;; amdgpu-corpus repo=ROCm/rocFFT kind=compiled arch=gfx1030 opt=O3
	.text
	.amdgcn_target "amdgcn-amd-amdhsa--gfx1030"
	.amdhsa_code_object_version 6
	.protected	fft_rtc_back_len408_factors_17_3_8_wgs_51_tpt_17_halfLds_dp_op_CI_CI_unitstride_sbrr_C2R_dirReg ; -- Begin function fft_rtc_back_len408_factors_17_3_8_wgs_51_tpt_17_halfLds_dp_op_CI_CI_unitstride_sbrr_C2R_dirReg
	.globl	fft_rtc_back_len408_factors_17_3_8_wgs_51_tpt_17_halfLds_dp_op_CI_CI_unitstride_sbrr_C2R_dirReg
	.p2align	8
	.type	fft_rtc_back_len408_factors_17_3_8_wgs_51_tpt_17_halfLds_dp_op_CI_CI_unitstride_sbrr_C2R_dirReg,@function
fft_rtc_back_len408_factors_17_3_8_wgs_51_tpt_17_halfLds_dp_op_CI_CI_unitstride_sbrr_C2R_dirReg: ; @fft_rtc_back_len408_factors_17_3_8_wgs_51_tpt_17_halfLds_dp_op_CI_CI_unitstride_sbrr_C2R_dirReg
; %bb.0:
	s_load_dwordx4 s[12:15], s[4:5], 0x0
	v_mul_u32_u24_e32 v1, 0xf10, v0
	s_clause 0x1
	s_load_dwordx4 s[8:11], s[4:5], 0x58
	s_load_dwordx4 s[16:19], s[4:5], 0x18
	v_mov_b32_e32 v5, 0
	v_lshrrev_b32_e32 v3, 16, v1
	v_mov_b32_e32 v1, 0
	v_mov_b32_e32 v2, 0
	v_mad_u64_u32 v[3:4], null, s6, 3, v[3:4]
	v_mov_b32_e32 v4, v5
	v_mov_b32_e32 v137, v2
	;; [unrolled: 1-line block ×5, first 2 shown]
	s_waitcnt lgkmcnt(0)
	v_cmp_lt_u64_e64 s0, s[14:15], 2
	s_and_b32 vcc_lo, exec_lo, s0
	s_cbranch_vccnz .LBB0_8
; %bb.1:
	s_load_dwordx2 s[0:1], s[4:5], 0x10
	v_mov_b32_e32 v1, 0
	v_mov_b32_e32 v2, 0
	s_add_u32 s2, s18, 8
	v_mov_b32_e32 v8, v4
	s_addc_u32 s3, s19, 0
	v_mov_b32_e32 v7, v3
	v_mov_b32_e32 v137, v2
	s_add_u32 s6, s16, 8
	v_mov_b32_e32 v136, v1
	s_addc_u32 s7, s17, 0
	s_mov_b64 s[22:23], 1
	s_waitcnt lgkmcnt(0)
	s_add_u32 s20, s0, 8
	s_addc_u32 s21, s1, 0
.LBB0_2:                                ; =>This Inner Loop Header: Depth=1
	s_load_dwordx2 s[24:25], s[20:21], 0x0
                                        ; implicit-def: $vgpr140_vgpr141
	s_mov_b32 s0, exec_lo
	s_waitcnt lgkmcnt(0)
	v_or_b32_e32 v6, s25, v8
	v_cmpx_ne_u64_e32 0, v[5:6]
	s_xor_b32 s1, exec_lo, s0
	s_cbranch_execz .LBB0_4
; %bb.3:                                ;   in Loop: Header=BB0_2 Depth=1
	v_cvt_f32_u32_e32 v4, s24
	v_cvt_f32_u32_e32 v6, s25
	s_sub_u32 s0, 0, s24
	s_subb_u32 s26, 0, s25
	v_fmac_f32_e32 v4, 0x4f800000, v6
	v_rcp_f32_e32 v4, v4
	v_mul_f32_e32 v4, 0x5f7ffffc, v4
	v_mul_f32_e32 v6, 0x2f800000, v4
	v_trunc_f32_e32 v6, v6
	v_fmac_f32_e32 v4, 0xcf800000, v6
	v_cvt_u32_f32_e32 v6, v6
	v_cvt_u32_f32_e32 v4, v4
	v_mul_lo_u32 v9, s0, v6
	v_mul_hi_u32 v10, s0, v4
	v_mul_lo_u32 v11, s26, v4
	v_add_nc_u32_e32 v9, v10, v9
	v_mul_lo_u32 v10, s0, v4
	v_add_nc_u32_e32 v9, v9, v11
	v_mul_hi_u32 v11, v4, v10
	v_mul_lo_u32 v12, v4, v9
	v_mul_hi_u32 v13, v4, v9
	v_mul_hi_u32 v14, v6, v10
	v_mul_lo_u32 v10, v6, v10
	v_mul_hi_u32 v15, v6, v9
	v_mul_lo_u32 v9, v6, v9
	v_add_co_u32 v11, vcc_lo, v11, v12
	v_add_co_ci_u32_e32 v12, vcc_lo, 0, v13, vcc_lo
	v_add_co_u32 v10, vcc_lo, v11, v10
	v_add_co_ci_u32_e32 v10, vcc_lo, v12, v14, vcc_lo
	v_add_co_ci_u32_e32 v11, vcc_lo, 0, v15, vcc_lo
	v_add_co_u32 v9, vcc_lo, v10, v9
	v_add_co_ci_u32_e32 v10, vcc_lo, 0, v11, vcc_lo
	v_add_co_u32 v4, vcc_lo, v4, v9
	v_add_co_ci_u32_e32 v6, vcc_lo, v6, v10, vcc_lo
	v_mul_hi_u32 v9, s0, v4
	v_mul_lo_u32 v11, s26, v4
	v_mul_lo_u32 v10, s0, v6
	v_add_nc_u32_e32 v9, v9, v10
	v_mul_lo_u32 v10, s0, v4
	v_add_nc_u32_e32 v9, v9, v11
	v_mul_hi_u32 v11, v4, v10
	v_mul_lo_u32 v12, v4, v9
	v_mul_hi_u32 v13, v4, v9
	v_mul_hi_u32 v14, v6, v10
	v_mul_lo_u32 v10, v6, v10
	v_mul_hi_u32 v15, v6, v9
	v_mul_lo_u32 v9, v6, v9
	v_add_co_u32 v11, vcc_lo, v11, v12
	v_add_co_ci_u32_e32 v12, vcc_lo, 0, v13, vcc_lo
	v_add_co_u32 v10, vcc_lo, v11, v10
	v_add_co_ci_u32_e32 v10, vcc_lo, v12, v14, vcc_lo
	v_add_co_ci_u32_e32 v11, vcc_lo, 0, v15, vcc_lo
	v_add_co_u32 v9, vcc_lo, v10, v9
	v_add_co_ci_u32_e32 v10, vcc_lo, 0, v11, vcc_lo
	v_add_co_u32 v4, vcc_lo, v4, v9
	v_add_co_ci_u32_e32 v6, vcc_lo, v6, v10, vcc_lo
	v_mul_hi_u32 v15, v7, v4
	v_mad_u64_u32 v[11:12], null, v8, v4, 0
	v_mad_u64_u32 v[9:10], null, v7, v6, 0
	;; [unrolled: 1-line block ×3, first 2 shown]
	v_add_co_u32 v4, vcc_lo, v15, v9
	v_add_co_ci_u32_e32 v6, vcc_lo, 0, v10, vcc_lo
	v_add_co_u32 v4, vcc_lo, v4, v11
	v_add_co_ci_u32_e32 v4, vcc_lo, v6, v12, vcc_lo
	v_add_co_ci_u32_e32 v6, vcc_lo, 0, v14, vcc_lo
	v_add_co_u32 v4, vcc_lo, v4, v13
	v_add_co_ci_u32_e32 v6, vcc_lo, 0, v6, vcc_lo
	v_mul_lo_u32 v11, s25, v4
	v_mad_u64_u32 v[9:10], null, s24, v4, 0
	v_mul_lo_u32 v12, s24, v6
	v_sub_co_u32 v9, vcc_lo, v7, v9
	v_add3_u32 v10, v10, v12, v11
	v_sub_nc_u32_e32 v11, v8, v10
	v_subrev_co_ci_u32_e64 v11, s0, s25, v11, vcc_lo
	v_add_co_u32 v12, s0, v4, 2
	v_add_co_ci_u32_e64 v13, s0, 0, v6, s0
	v_sub_co_u32 v14, s0, v9, s24
	v_sub_co_ci_u32_e32 v10, vcc_lo, v8, v10, vcc_lo
	v_subrev_co_ci_u32_e64 v11, s0, 0, v11, s0
	v_cmp_le_u32_e32 vcc_lo, s24, v14
	v_cmp_eq_u32_e64 s0, s25, v10
	v_cndmask_b32_e64 v14, 0, -1, vcc_lo
	v_cmp_le_u32_e32 vcc_lo, s25, v11
	v_cndmask_b32_e64 v15, 0, -1, vcc_lo
	v_cmp_le_u32_e32 vcc_lo, s24, v9
	;; [unrolled: 2-line block ×3, first 2 shown]
	v_cndmask_b32_e64 v16, 0, -1, vcc_lo
	v_cmp_eq_u32_e32 vcc_lo, s25, v11
	v_cndmask_b32_e64 v9, v16, v9, s0
	v_cndmask_b32_e32 v11, v15, v14, vcc_lo
	v_add_co_u32 v14, vcc_lo, v4, 1
	v_add_co_ci_u32_e32 v15, vcc_lo, 0, v6, vcc_lo
	v_cmp_ne_u32_e32 vcc_lo, 0, v11
	v_cndmask_b32_e32 v10, v15, v13, vcc_lo
	v_cndmask_b32_e32 v11, v14, v12, vcc_lo
	v_cmp_ne_u32_e32 vcc_lo, 0, v9
	v_cndmask_b32_e32 v141, v6, v10, vcc_lo
	v_cndmask_b32_e32 v140, v4, v11, vcc_lo
.LBB0_4:                                ;   in Loop: Header=BB0_2 Depth=1
	s_andn2_saveexec_b32 s0, s1
	s_cbranch_execz .LBB0_6
; %bb.5:                                ;   in Loop: Header=BB0_2 Depth=1
	v_cvt_f32_u32_e32 v4, s24
	s_sub_i32 s1, 0, s24
	v_mov_b32_e32 v141, v5
	v_rcp_iflag_f32_e32 v4, v4
	v_mul_f32_e32 v4, 0x4f7ffffe, v4
	v_cvt_u32_f32_e32 v4, v4
	v_mul_lo_u32 v6, s1, v4
	v_mul_hi_u32 v6, v4, v6
	v_add_nc_u32_e32 v4, v4, v6
	v_mul_hi_u32 v4, v7, v4
	v_mul_lo_u32 v6, v4, s24
	v_add_nc_u32_e32 v9, 1, v4
	v_sub_nc_u32_e32 v6, v7, v6
	v_subrev_nc_u32_e32 v10, s24, v6
	v_cmp_le_u32_e32 vcc_lo, s24, v6
	v_cndmask_b32_e32 v6, v6, v10, vcc_lo
	v_cndmask_b32_e32 v4, v4, v9, vcc_lo
	v_cmp_le_u32_e32 vcc_lo, s24, v6
	v_add_nc_u32_e32 v9, 1, v4
	v_cndmask_b32_e32 v140, v4, v9, vcc_lo
.LBB0_6:                                ;   in Loop: Header=BB0_2 Depth=1
	s_or_b32 exec_lo, exec_lo, s0
	v_mul_lo_u32 v4, v141, s24
	v_mul_lo_u32 v6, v140, s25
	s_load_dwordx2 s[0:1], s[6:7], 0x0
	v_mad_u64_u32 v[9:10], null, v140, s24, 0
	s_load_dwordx2 s[24:25], s[2:3], 0x0
	s_add_u32 s22, s22, 1
	s_addc_u32 s23, s23, 0
	s_add_u32 s2, s2, 8
	s_addc_u32 s3, s3, 0
	s_add_u32 s6, s6, 8
	v_add3_u32 v4, v10, v6, v4
	v_sub_co_u32 v6, vcc_lo, v7, v9
	s_addc_u32 s7, s7, 0
	s_add_u32 s20, s20, 8
	v_sub_co_ci_u32_e32 v4, vcc_lo, v8, v4, vcc_lo
	s_addc_u32 s21, s21, 0
	s_waitcnt lgkmcnt(0)
	v_mul_lo_u32 v7, s0, v4
	v_mul_lo_u32 v8, s1, v6
	v_mad_u64_u32 v[1:2], null, s0, v6, v[1:2]
	v_mul_lo_u32 v4, s24, v4
	v_mul_lo_u32 v9, s25, v6
	v_mad_u64_u32 v[136:137], null, s24, v6, v[136:137]
	v_cmp_ge_u64_e64 s0, s[22:23], s[14:15]
	v_add3_u32 v2, v8, v2, v7
	v_add3_u32 v137, v9, v137, v4
	s_and_b32 vcc_lo, exec_lo, s0
	s_cbranch_vccnz .LBB0_8
; %bb.7:                                ;   in Loop: Header=BB0_2 Depth=1
	v_mov_b32_e32 v7, v140
	v_mov_b32_e32 v8, v141
	s_branch .LBB0_2
.LBB0_8:
	s_load_dwordx2 s[0:1], s[4:5], 0x28
	v_mul_hi_u32 v4, 0xaaaaaaab, v3
	s_lshl_b64 s[4:5], s[14:15], 3
                                        ; implicit-def: $vgpr138
	s_add_u32 s2, s18, s4
	s_addc_u32 s3, s19, s5
	v_lshrrev_b32_e32 v4, 1, v4
	v_lshl_add_u32 v5, v4, 1, v4
	v_mul_hi_u32 v4, 0xf0f0f10, v0
	v_sub_nc_u32_e32 v3, v3, v5
	s_waitcnt lgkmcnt(0)
	v_cmp_gt_u64_e32 vcc_lo, s[0:1], v[140:141]
	v_cmp_le_u64_e64 s0, s[0:1], v[140:141]
	s_and_saveexec_b32 s1, s0
	s_xor_b32 s0, exec_lo, s1
; %bb.9:
	v_mul_u32_u24_e32 v1, 17, v4
                                        ; implicit-def: $vgpr4
	v_sub_nc_u32_e32 v138, v0, v1
                                        ; implicit-def: $vgpr0
                                        ; implicit-def: $vgpr1_vgpr2
; %bb.10:
	s_or_saveexec_b32 s1, s0
	s_load_dwordx2 s[2:3], s[2:3], 0x0
	v_mul_u32_u24_e32 v3, 0x199, v3
	v_lshlrev_b32_e32 v144, 4, v3
	s_xor_b32 exec_lo, exec_lo, s1
	s_cbranch_execz .LBB0_14
; %bb.11:
	s_add_u32 s4, s16, s4
	s_addc_u32 s5, s17, s5
	v_lshlrev_b64 v[1:2], 4, v[1:2]
	s_load_dwordx2 s[4:5], s[4:5], 0x0
	s_waitcnt lgkmcnt(0)
	v_mul_lo_u32 v7, s5, v140
	v_mul_lo_u32 v8, s4, v141
	v_mad_u64_u32 v[5:6], null, s4, v140, 0
	v_add3_u32 v6, v6, v8, v7
	v_mul_u32_u24_e32 v7, 17, v4
	v_lshlrev_b64 v[4:5], 4, v[5:6]
	v_sub_nc_u32_e32 v138, v0, v7
	v_lshlrev_b32_e32 v100, 4, v138
	v_add_co_u32 v0, s0, s8, v4
	v_add_co_ci_u32_e64 v4, s0, s9, v5, s0
	v_add_co_u32 v0, s0, v0, v1
	v_add_co_ci_u32_e64 v1, s0, v4, v2, s0
	v_add3_u32 v2, 0, v144, v100
	v_add_co_u32 v36, s0, v0, v100
	v_add_co_ci_u32_e64 v37, s0, 0, v1, s0
	s_clause 0x5
	global_load_dwordx4 v[4:7], v[36:37], off
	global_load_dwordx4 v[8:11], v[36:37], off offset:272
	global_load_dwordx4 v[12:15], v[36:37], off offset:544
	;; [unrolled: 1-line block ×5, first 2 shown]
	v_add_co_u32 v64, s0, 0x800, v36
	v_add_co_ci_u32_e64 v65, s0, 0, v37, s0
	v_add_co_u32 v92, s0, 0x1000, v36
	v_add_co_ci_u32_e64 v93, s0, 0, v37, s0
	;; [unrolled: 2-line block ×3, first 2 shown]
	s_clause 0x11
	global_load_dwordx4 v[28:31], v[36:37], off offset:1632
	global_load_dwordx4 v[32:35], v[36:37], off offset:1904
	;; [unrolled: 1-line block ×18, first 2 shown]
	v_cmp_eq_u32_e64 s0, 16, v138
	s_waitcnt vmcnt(23)
	ds_write_b128 v2, v[4:7]
	s_waitcnt vmcnt(22)
	ds_write_b128 v2, v[8:11] offset:272
	s_waitcnt vmcnt(21)
	ds_write_b128 v2, v[12:15] offset:544
	s_waitcnt vmcnt(20)
	ds_write_b128 v2, v[16:19] offset:816
	s_waitcnt vmcnt(19)
	ds_write_b128 v2, v[20:23] offset:1088
	s_waitcnt vmcnt(18)
	ds_write_b128 v2, v[24:27] offset:1360
	s_waitcnt vmcnt(17)
	ds_write_b128 v2, v[28:31] offset:1632
	s_waitcnt vmcnt(16)
	ds_write_b128 v2, v[32:35] offset:1904
	s_waitcnt vmcnt(15)
	ds_write_b128 v2, v[36:39] offset:2176
	s_waitcnt vmcnt(14)
	ds_write_b128 v2, v[40:43] offset:2448
	s_waitcnt vmcnt(13)
	ds_write_b128 v2, v[44:47] offset:2720
	s_waitcnt vmcnt(12)
	ds_write_b128 v2, v[48:51] offset:2992
	s_waitcnt vmcnt(11)
	ds_write_b128 v2, v[52:55] offset:3264
	s_waitcnt vmcnt(10)
	ds_write_b128 v2, v[56:59] offset:3536
	s_waitcnt vmcnt(9)
	ds_write_b128 v2, v[60:63] offset:3808
	s_waitcnt vmcnt(8)
	ds_write_b128 v2, v[64:67] offset:4080
	s_waitcnt vmcnt(7)
	ds_write_b128 v2, v[68:71] offset:4352
	s_waitcnt vmcnt(6)
	ds_write_b128 v2, v[72:75] offset:4624
	s_waitcnt vmcnt(5)
	ds_write_b128 v2, v[76:79] offset:4896
	s_waitcnt vmcnt(4)
	ds_write_b128 v2, v[80:83] offset:5168
	s_waitcnt vmcnt(3)
	ds_write_b128 v2, v[84:87] offset:5440
	s_waitcnt vmcnt(2)
	ds_write_b128 v2, v[88:91] offset:5712
	s_waitcnt vmcnt(1)
	ds_write_b128 v2, v[92:95] offset:5984
	s_waitcnt vmcnt(0)
	ds_write_b128 v2, v[96:99] offset:6256
	s_and_saveexec_b32 s4, s0
	s_cbranch_execz .LBB0_13
; %bb.12:
	v_add_co_u32 v0, s0, 0x1800, v0
	v_add_co_ci_u32_e64 v1, s0, 0, v1, s0
	v_mov_b32_e32 v138, 16
	global_load_dwordx4 v[4:7], v[0:1], off offset:384
	s_waitcnt vmcnt(0)
	ds_write_b128 v2, v[4:7] offset:6272
.LBB0_13:
	s_or_b32 exec_lo, exec_lo, s4
.LBB0_14:
	s_or_b32 exec_lo, exec_lo, s1
	v_lshl_add_u32 v142, v3, 4, 0
	v_lshlrev_b32_e32 v0, 4, v138
	s_waitcnt lgkmcnt(0)
	s_barrier
	buffer_gl0_inv
	s_add_u32 s1, s12, 0x1870
	v_add_nc_u32_e32 v143, v142, v0
	v_sub_nc_u32_e32 v10, v142, v0
	s_addc_u32 s4, s13, 0
	s_mov_b32 s5, exec_lo
	ds_read_b64 v[6:7], v143
	ds_read_b64 v[8:9], v10 offset:6528
                                        ; implicit-def: $vgpr4_vgpr5
	s_waitcnt lgkmcnt(0)
	v_add_f64 v[0:1], v[6:7], v[8:9]
	v_add_f64 v[2:3], v[6:7], -v[8:9]
	v_cmpx_ne_u32_e32 0, v138
	s_xor_b32 s5, exec_lo, s5
	s_cbranch_execz .LBB0_16
; %bb.15:
	v_mov_b32_e32 v139, 0
	v_add_f64 v[13:14], v[6:7], v[8:9]
	v_add_f64 v[15:16], v[6:7], -v[8:9]
	v_lshlrev_b64 v[0:1], 4, v[138:139]
	v_add_co_u32 v0, s0, s1, v0
	v_add_co_ci_u32_e64 v1, s0, s4, v1, s0
	global_load_dwordx4 v[2:5], v[0:1], off
	ds_read_b64 v[0:1], v10 offset:6536
	ds_read_b64 v[11:12], v143 offset:8
	s_waitcnt lgkmcnt(0)
	v_add_f64 v[6:7], v[0:1], v[11:12]
	v_add_f64 v[0:1], v[11:12], -v[0:1]
	s_waitcnt vmcnt(0)
	v_fma_f64 v[8:9], v[15:16], v[4:5], v[13:14]
	v_fma_f64 v[11:12], -v[15:16], v[4:5], v[13:14]
	v_fma_f64 v[13:14], v[6:7], v[4:5], -v[0:1]
	v_fma_f64 v[4:5], v[6:7], v[4:5], v[0:1]
	v_fma_f64 v[0:1], -v[6:7], v[2:3], v[8:9]
	v_fma_f64 v[6:7], v[6:7], v[2:3], v[11:12]
	v_fma_f64 v[8:9], v[15:16], v[2:3], v[13:14]
	;; [unrolled: 1-line block ×3, first 2 shown]
	v_mov_b32_e32 v4, v138
	v_mov_b32_e32 v5, v139
	ds_write_b128 v10, v[6:9] offset:6528
.LBB0_16:
	s_andn2_saveexec_b32 s0, s5
	s_cbranch_execz .LBB0_18
; %bb.17:
	ds_read_b128 v[4:7], v142 offset:3264
	s_waitcnt lgkmcnt(0)
	v_add_f64 v[11:12], v[4:5], v[4:5]
	v_mul_f64 v[13:14], v[6:7], -2.0
	v_mov_b32_e32 v4, 0
	v_mov_b32_e32 v5, 0
	ds_write_b128 v142, v[11:14] offset:3264
.LBB0_18:
	s_or_b32 exec_lo, exec_lo, s0
	v_lshlrev_b64 v[4:5], 4, v[4:5]
	s_mov_b32 s40, 0x5d8e7cdc
	s_mov_b32 s36, 0x2a9d6da3
	;; [unrolled: 1-line block ×5, first 2 shown]
	v_add_co_u32 v4, s0, s1, v4
	v_add_co_ci_u32_e64 v5, s0, s4, v5, s0
	s_mov_b32 s26, 0x6c9a05f6
	s_mov_b32 s24, 0x4363dd80
	;; [unrolled: 1-line block ×3, first 2 shown]
	s_clause 0x2
	global_load_dwordx4 v[6:9], v[4:5], off offset:272
	global_load_dwordx4 v[11:14], v[4:5], off offset:544
	;; [unrolled: 1-line block ×3, first 2 shown]
	ds_write_b128 v143, v[0:3]
	ds_read_b128 v[0:3], v143 offset:272
	ds_read_b128 v[19:22], v10 offset:6256
	s_mov_b32 s41, 0xbfd71e95
	s_mov_b32 s37, 0xbfe58eea
	;; [unrolled: 1-line block ×19, first 2 shown]
	s_waitcnt lgkmcnt(0)
	v_add_f64 v[23:24], v[0:1], v[19:20]
	v_add_f64 v[25:26], v[21:22], v[2:3]
	v_add_f64 v[27:28], v[0:1], -v[19:20]
	v_add_f64 v[29:30], v[2:3], -v[21:22]
	global_load_dwordx4 v[19:22], v[4:5], off offset:1088
	s_mov_b32 s5, 0x3fb79ee6
	s_mov_b32 s21, 0xbfd183b1
	;; [unrolled: 1-line block ×21, first 2 shown]
	s_mov_b32 s1, exec_lo
	s_waitcnt vmcnt(3)
	v_fma_f64 v[0:1], v[27:28], v[8:9], v[23:24]
	v_fma_f64 v[2:3], v[25:26], v[8:9], v[29:30]
	v_fma_f64 v[23:24], -v[27:28], v[8:9], v[23:24]
	v_fma_f64 v[8:9], v[25:26], v[8:9], -v[29:30]
	v_fma_f64 v[0:1], -v[25:26], v[6:7], v[0:1]
	v_fma_f64 v[2:3], v[27:28], v[6:7], v[2:3]
	v_fma_f64 v[23:24], v[25:26], v[6:7], v[23:24]
	v_fma_f64 v[25:26], v[27:28], v[6:7], v[8:9]
	ds_write_b128 v143, v[0:3] offset:272
	ds_write_b128 v10, v[23:26] offset:6256
	ds_read_b128 v[0:3], v143 offset:544
	ds_read_b128 v[6:9], v10 offset:5984
	s_waitcnt lgkmcnt(0)
	v_add_f64 v[23:24], v[0:1], v[6:7]
	v_add_f64 v[25:26], v[8:9], v[2:3]
	v_add_f64 v[27:28], v[0:1], -v[6:7]
	v_add_f64 v[0:1], v[2:3], -v[8:9]
	s_waitcnt vmcnt(2)
	v_fma_f64 v[2:3], v[27:28], v[13:14], v[23:24]
	v_fma_f64 v[6:7], v[25:26], v[13:14], v[0:1]
	v_fma_f64 v[23:24], -v[27:28], v[13:14], v[23:24]
	v_fma_f64 v[13:14], v[25:26], v[13:14], -v[0:1]
	v_fma_f64 v[0:1], -v[25:26], v[11:12], v[2:3]
	v_fma_f64 v[2:3], v[27:28], v[11:12], v[6:7]
	global_load_dwordx4 v[6:9], v[4:5], off offset:1360
	v_fma_f64 v[23:24], v[25:26], v[11:12], v[23:24]
	v_fma_f64 v[25:26], v[27:28], v[11:12], v[13:14]
	ds_write_b128 v143, v[0:3] offset:544
	ds_write_b128 v10, v[23:26] offset:5984
	ds_read_b128 v[0:3], v143 offset:816
	ds_read_b128 v[11:14], v10 offset:5712
	s_waitcnt lgkmcnt(0)
	v_add_f64 v[23:24], v[0:1], v[11:12]
	v_add_f64 v[25:26], v[13:14], v[2:3]
	v_add_f64 v[27:28], v[0:1], -v[11:12]
	v_add_f64 v[0:1], v[2:3], -v[13:14]
	s_waitcnt vmcnt(2)
	v_fma_f64 v[2:3], v[27:28], v[17:18], v[23:24]
	v_fma_f64 v[11:12], v[25:26], v[17:18], v[0:1]
	v_fma_f64 v[23:24], -v[27:28], v[17:18], v[23:24]
	v_fma_f64 v[17:18], v[25:26], v[17:18], -v[0:1]
	v_fma_f64 v[0:1], -v[25:26], v[15:16], v[2:3]
	v_fma_f64 v[2:3], v[27:28], v[15:16], v[11:12]
	global_load_dwordx4 v[11:14], v[4:5], off offset:1632
	v_fma_f64 v[23:24], v[25:26], v[15:16], v[23:24]
	v_fma_f64 v[25:26], v[27:28], v[15:16], v[17:18]
	ds_write_b128 v143, v[0:3] offset:816
	ds_write_b128 v10, v[23:26] offset:5712
	ds_read_b128 v[0:3], v143 offset:1088
	ds_read_b128 v[15:18], v10 offset:5440
	s_waitcnt lgkmcnt(0)
	v_add_f64 v[23:24], v[0:1], v[15:16]
	v_add_f64 v[25:26], v[17:18], v[2:3]
	v_add_f64 v[27:28], v[0:1], -v[15:16]
	v_add_f64 v[29:30], v[2:3], -v[17:18]
	global_load_dwordx4 v[15:18], v[4:5], off offset:1904
	s_waitcnt vmcnt(3)
	v_fma_f64 v[0:1], v[27:28], v[21:22], v[23:24]
	v_fma_f64 v[2:3], v[25:26], v[21:22], v[29:30]
	v_fma_f64 v[23:24], -v[27:28], v[21:22], v[23:24]
	v_fma_f64 v[29:30], v[25:26], v[21:22], -v[29:30]
	v_fma_f64 v[0:1], -v[25:26], v[19:20], v[0:1]
	v_fma_f64 v[2:3], v[27:28], v[19:20], v[2:3]
	v_fma_f64 v[21:22], v[25:26], v[19:20], v[23:24]
	;; [unrolled: 1-line block ×3, first 2 shown]
	v_add_co_u32 v29, s0, 0x800, v4
	v_add_co_ci_u32_e64 v30, s0, 0, v5, s0
	ds_write_b128 v143, v[0:3] offset:1088
	ds_write_b128 v10, v[21:24] offset:5440
	ds_read_b128 v[0:3], v143 offset:1360
	ds_read_b128 v[19:22], v10 offset:5168
	s_waitcnt lgkmcnt(0)
	v_add_f64 v[23:24], v[0:1], v[19:20]
	v_add_f64 v[25:26], v[21:22], v[2:3]
	v_add_f64 v[27:28], v[0:1], -v[19:20]
	v_add_f64 v[0:1], v[2:3], -v[21:22]
	s_waitcnt vmcnt(2)
	v_fma_f64 v[2:3], v[27:28], v[8:9], v[23:24]
	v_fma_f64 v[19:20], v[25:26], v[8:9], v[0:1]
	v_fma_f64 v[23:24], -v[27:28], v[8:9], v[23:24]
	v_fma_f64 v[8:9], v[25:26], v[8:9], -v[0:1]
	v_fma_f64 v[0:1], -v[25:26], v[6:7], v[2:3]
	v_fma_f64 v[2:3], v[27:28], v[6:7], v[19:20]
	global_load_dwordx4 v[19:22], v[29:30], off offset:128
	v_fma_f64 v[4:5], v[25:26], v[6:7], v[23:24]
	v_fma_f64 v[6:7], v[27:28], v[6:7], v[8:9]
	ds_write_b128 v143, v[0:3] offset:1360
	ds_write_b128 v10, v[4:7] offset:5168
	ds_read_b128 v[0:3], v143 offset:1632
	ds_read_b128 v[4:7], v10 offset:4896
	s_waitcnt lgkmcnt(0)
	v_add_f64 v[8:9], v[0:1], v[4:5]
	v_add_f64 v[23:24], v[6:7], v[2:3]
	v_add_f64 v[25:26], v[0:1], -v[4:5]
	v_add_f64 v[0:1], v[2:3], -v[6:7]
	s_waitcnt vmcnt(2)
	v_fma_f64 v[2:3], v[25:26], v[13:14], v[8:9]
	v_fma_f64 v[4:5], v[23:24], v[13:14], v[0:1]
	v_fma_f64 v[8:9], -v[25:26], v[13:14], v[8:9]
	v_fma_f64 v[13:14], v[23:24], v[13:14], -v[0:1]
	v_fma_f64 v[0:1], -v[23:24], v[11:12], v[2:3]
	v_fma_f64 v[2:3], v[25:26], v[11:12], v[4:5]
	global_load_dwordx4 v[4:7], v[29:30], off offset:400
	v_fma_f64 v[23:24], v[23:24], v[11:12], v[8:9]
	v_fma_f64 v[25:26], v[25:26], v[11:12], v[13:14]
	ds_write_b128 v143, v[0:3] offset:1632
	ds_write_b128 v10, v[23:26] offset:4896
	ds_read_b128 v[0:3], v143 offset:1904
	ds_read_b128 v[11:14], v10 offset:4624
	s_waitcnt lgkmcnt(0)
	v_add_f64 v[8:9], v[0:1], v[11:12]
	v_add_f64 v[23:24], v[13:14], v[2:3]
	v_add_f64 v[25:26], v[0:1], -v[11:12]
	v_add_f64 v[27:28], v[2:3], -v[13:14]
	global_load_dwordx4 v[11:14], v[29:30], off offset:672
	s_waitcnt vmcnt(3)
	v_fma_f64 v[0:1], v[25:26], v[17:18], v[8:9]
	v_fma_f64 v[2:3], v[23:24], v[17:18], v[27:28]
	v_fma_f64 v[8:9], -v[25:26], v[17:18], v[8:9]
	v_fma_f64 v[17:18], v[23:24], v[17:18], -v[27:28]
	v_fma_f64 v[0:1], -v[23:24], v[15:16], v[0:1]
	v_fma_f64 v[2:3], v[25:26], v[15:16], v[2:3]
	v_fma_f64 v[23:24], v[23:24], v[15:16], v[8:9]
	;; [unrolled: 1-line block ×3, first 2 shown]
	ds_write_b128 v143, v[0:3] offset:1904
	ds_write_b128 v10, v[23:26] offset:4624
	ds_read_b128 v[0:3], v143 offset:2176
	ds_read_b128 v[15:18], v10 offset:4352
	global_load_dwordx4 v[23:26], v[29:30], off offset:944
	s_waitcnt lgkmcnt(0)
	v_add_f64 v[8:9], v[0:1], v[15:16]
	v_add_f64 v[27:28], v[17:18], v[2:3]
	v_add_f64 v[29:30], v[0:1], -v[15:16]
	v_add_f64 v[0:1], v[2:3], -v[17:18]
	s_waitcnt vmcnt(3)
	v_fma_f64 v[2:3], v[29:30], v[21:22], v[8:9]
	v_fma_f64 v[15:16], v[27:28], v[21:22], v[0:1]
	v_fma_f64 v[8:9], -v[29:30], v[21:22], v[8:9]
	v_fma_f64 v[17:18], v[27:28], v[21:22], -v[0:1]
	v_fma_f64 v[0:1], -v[27:28], v[19:20], v[2:3]
	v_fma_f64 v[2:3], v[29:30], v[19:20], v[15:16]
	v_fma_f64 v[15:16], v[27:28], v[19:20], v[8:9]
	;; [unrolled: 1-line block ×3, first 2 shown]
	v_xor_b32_e32 v8, 0xff, v138
	ds_write_b128 v143, v[0:3] offset:2176
	ds_write_b128 v10, v[15:18] offset:4352
	v_lshl_add_u32 v27, v8, 4, v142
	ds_read_b128 v[0:3], v143 offset:2448
	ds_read_b128 v[15:18], v27
	s_waitcnt lgkmcnt(0)
	v_add_f64 v[8:9], v[0:1], v[15:16]
	v_add_f64 v[19:20], v[17:18], v[2:3]
	v_add_f64 v[15:16], v[0:1], -v[15:16]
	v_add_f64 v[0:1], v[2:3], -v[17:18]
	s_waitcnt vmcnt(2)
	v_fma_f64 v[2:3], v[15:16], v[6:7], v[8:9]
	v_fma_f64 v[17:18], v[19:20], v[6:7], v[0:1]
	v_fma_f64 v[8:9], -v[15:16], v[6:7], v[8:9]
	v_fma_f64 v[21:22], v[19:20], v[6:7], -v[0:1]
	v_fma_f64 v[0:1], -v[19:20], v[4:5], v[2:3]
	v_fma_f64 v[2:3], v[15:16], v[4:5], v[17:18]
	v_fma_f64 v[6:7], v[19:20], v[4:5], v[8:9]
	;; [unrolled: 1-line block ×3, first 2 shown]
	ds_write_b128 v143, v[0:3] offset:2448
	ds_write_b128 v27, v[6:9]
	ds_read_b128 v[0:3], v143 offset:2720
	ds_read_b128 v[4:7], v10 offset:3808
	s_waitcnt lgkmcnt(0)
	v_add_f64 v[8:9], v[0:1], v[4:5]
	v_add_f64 v[15:16], v[6:7], v[2:3]
	v_add_f64 v[17:18], v[0:1], -v[4:5]
	v_add_f64 v[0:1], v[2:3], -v[6:7]
	s_waitcnt vmcnt(1)
	v_fma_f64 v[2:3], v[17:18], v[13:14], v[8:9]
	v_fma_f64 v[4:5], v[15:16], v[13:14], v[0:1]
	v_fma_f64 v[6:7], -v[17:18], v[13:14], v[8:9]
	v_fma_f64 v[8:9], v[15:16], v[13:14], -v[0:1]
	v_fma_f64 v[0:1], -v[15:16], v[11:12], v[2:3]
	v_fma_f64 v[2:3], v[17:18], v[11:12], v[4:5]
	v_fma_f64 v[4:5], v[15:16], v[11:12], v[6:7]
	v_fma_f64 v[6:7], v[17:18], v[11:12], v[8:9]
	ds_write_b128 v143, v[0:3] offset:2720
	ds_write_b128 v10, v[4:7] offset:3808
	ds_read_b128 v[0:3], v143 offset:2992
	ds_read_b128 v[4:7], v10 offset:3536
	s_waitcnt lgkmcnt(0)
	v_add_f64 v[8:9], v[0:1], v[4:5]
	v_add_f64 v[11:12], v[6:7], v[2:3]
	v_add_f64 v[13:14], v[0:1], -v[4:5]
	v_add_f64 v[0:1], v[2:3], -v[6:7]
	s_waitcnt vmcnt(0)
	v_fma_f64 v[2:3], v[13:14], v[25:26], v[8:9]
	v_fma_f64 v[4:5], v[11:12], v[25:26], v[0:1]
	v_fma_f64 v[6:7], -v[13:14], v[25:26], v[8:9]
	v_fma_f64 v[8:9], v[11:12], v[25:26], -v[0:1]
	v_fma_f64 v[0:1], -v[11:12], v[23:24], v[2:3]
	v_fma_f64 v[2:3], v[13:14], v[23:24], v[4:5]
	v_fma_f64 v[4:5], v[11:12], v[23:24], v[6:7]
	;; [unrolled: 1-line block ×3, first 2 shown]
	v_lshl_add_u32 v8, v138, 4, 0
	ds_write_b128 v143, v[0:3] offset:2992
	ds_write_b128 v10, v[4:7] offset:3536
	v_add_nc_u32_e32 v139, v8, v144
	s_waitcnt lgkmcnt(0)
	s_barrier
	buffer_gl0_inv
	s_barrier
	buffer_gl0_inv
	ds_read_b128 v[4:7], v143
	ds_read_b128 v[0:3], v139 offset:384
	ds_read_b128 v[8:11], v139 offset:768
	s_waitcnt lgkmcnt(1)
	v_add_f64 v[12:13], v[4:5], v[0:1]
	v_add_f64 v[14:15], v[6:7], v[2:3]
	s_waitcnt lgkmcnt(0)
	v_add_f64 v[16:17], v[12:13], v[8:9]
	v_add_f64 v[18:19], v[14:15], v[10:11]
	ds_read_b128 v[12:15], v139 offset:1152
	s_waitcnt lgkmcnt(0)
	v_add_f64 v[20:21], v[16:17], v[12:13]
	v_add_f64 v[22:23], v[18:19], v[14:15]
	ds_read_b128 v[16:19], v139 offset:1536
	;; [unrolled: 4-line block ×7, first 2 shown]
	s_waitcnt lgkmcnt(0)
	v_add_f64 v[64:65], v[32:33], v[36:37]
	v_add_f64 v[60:61], v[34:35], v[38:39]
	v_add_f64 v[66:67], v[32:33], -v[36:37]
	v_add_f64 v[62:63], v[34:35], -v[38:39]
	ds_read_b128 v[32:35], v139 offset:3840
	v_add_f64 v[36:37], v[40:41], v[36:37]
	v_add_f64 v[38:39], v[42:43], v[38:39]
	s_waitcnt lgkmcnt(0)
	v_add_f64 v[68:69], v[28:29], v[32:33]
	v_add_f64 v[80:81], v[30:31], v[34:35]
	v_add_f64 v[70:71], v[28:29], -v[32:33]
	v_add_f64 v[84:85], v[30:31], -v[34:35]
	ds_read_b128 v[28:31], v139 offset:4224
	v_add_f64 v[32:33], v[36:37], v[32:33]
	v_add_f64 v[34:35], v[38:39], v[34:35]
	;; [unrolled: 8-line block ×7, first 2 shown]
	s_waitcnt lgkmcnt(0)
	v_add_f64 v[22:23], v[2:3], -v[10:11]
	v_add_f64 v[16:17], v[0:1], v[8:9]
	v_add_f64 v[18:19], v[2:3], v[10:11]
	v_add_f64 v[20:21], v[0:1], -v[8:9]
	v_add_f64 v[0:1], v[12:13], v[8:9]
	v_add_f64 v[2:3], v[14:15], v[10:11]
	v_mul_f64 v[8:9], v[22:23], s[40:41]
	v_mul_f64 v[10:11], v[22:23], s[36:37]
	;; [unrolled: 1-line block ×14, first 2 shown]
	v_fma_f64 v[30:31], v[16:17], s[38:39], v[8:9]
	v_fma_f64 v[8:9], v[16:17], s[38:39], -v[8:9]
	v_fma_f64 v[32:33], v[16:17], s[14:15], v[10:11]
	v_fma_f64 v[10:11], v[16:17], s[14:15], -v[10:11]
	;; [unrolled: 2-line block ×8, first 2 shown]
	v_mul_f64 v[22:23], v[18:19], s[38:39]
	v_mul_f64 v[18:19], v[18:19], s[6:7]
	v_fma_f64 v[116:117], v[20:21], s[50:51], v[46:47]
	v_fma_f64 v[46:47], v[20:21], s[36:37], v[46:47]
	;; [unrolled: 1-line block ×12, first 2 shown]
	v_add_f64 v[32:33], v[4:5], v[32:33]
	v_add_f64 v[132:133], v[4:5], v[10:11]
	v_add_f64 v[34:35], v[4:5], v[34:35]
	v_add_f64 v[145:146], v[4:5], v[12:13]
	v_add_f64 v[36:37], v[4:5], v[36:37]
	v_add_f64 v[147:148], v[4:5], v[14:15]
	v_add_f64 v[38:39], v[4:5], v[38:39]
	v_add_f64 v[149:150], v[4:5], v[24:25]
	v_fma_f64 v[58:59], v[20:21], s[42:43], v[22:23]
	v_fma_f64 v[22:23], v[20:21], s[40:41], v[22:23]
	;; [unrolled: 1-line block ×4, first 2 shown]
	v_add_f64 v[20:21], v[4:5], v[30:31]
	v_add_f64 v[130:131], v[6:7], v[116:117]
	;; [unrolled: 1-line block ×20, first 2 shown]
	v_mul_f64 v[4:5], v[114:115], s[36:37]
	v_add_f64 v[22:23], v[6:7], v[22:23]
	v_add_f64 v[56:57], v[6:7], v[56:57]
	;; [unrolled: 1-line block ×4, first 2 shown]
	v_mul_f64 v[12:13], v[112:113], s[14:15]
	v_mul_f64 v[14:15], v[110:111], s[34:35]
	;; [unrolled: 1-line block ×10, first 2 shown]
	v_fma_f64 v[6:7], v[96:97], s[14:15], v[4:5]
	v_fma_f64 v[4:5], v[96:97], s[14:15], -v[4:5]
	v_fma_f64 v[8:9], v[98:99], s[50:51], v[12:13]
	v_fma_f64 v[10:11], v[90:91], s[8:9], v[14:15]
	;; [unrolled: 1-line block ×3, first 2 shown]
	v_fma_f64 v[14:15], v[90:91], s[8:9], -v[14:15]
	v_add_f64 v[6:7], v[6:7], v[20:21]
	v_mul_f64 v[20:21], v[104:105], s[4:5]
	v_add_f64 v[4:5], v[4:5], v[58:59]
	v_mul_f64 v[58:59], v[80:81], s[8:9]
	;; [unrolled: 2-line block ×4, first 2 shown]
	v_add_f64 v[6:7], v[10:11], v[6:7]
	v_fma_f64 v[10:11], v[92:93], s[44:45], v[16:17]
	v_add_f64 v[4:5], v[14:15], v[4:5]
	v_fma_f64 v[14:15], v[92:93], s[34:35], v[16:17]
	;; [unrolled: 2-line block ×3, first 2 shown]
	v_add_f64 v[12:13], v[14:15], v[12:13]
	v_fma_f64 v[14:15], v[82:83], s[4:5], -v[18:19]
	v_fma_f64 v[18:19], v[90:91], s[18:19], v[22:23]
	v_fma_f64 v[22:23], v[90:91], s[18:19], -v[22:23]
	v_add_f64 v[6:7], v[10:11], v[6:7]
	v_fma_f64 v[10:11], v[86:87], s[56:57], v[20:21]
	v_add_f64 v[4:5], v[14:15], v[4:5]
	v_fma_f64 v[14:15], v[86:87], s[30:31], v[20:21]
	v_mul_f64 v[20:21], v[112:113], s[4:5]
	v_add_f64 v[8:9], v[10:11], v[8:9]
	v_fma_f64 v[10:11], v[76:77], s[20:21], v[24:25]
	v_add_f64 v[12:13], v[14:15], v[12:13]
	v_fma_f64 v[14:15], v[76:77], s[20:21], -v[24:25]
	v_fma_f64 v[16:17], v[98:99], s[56:57], v[20:21]
	v_mul_f64 v[24:25], v[108:109], s[18:19]
	v_fma_f64 v[20:21], v[98:99], s[30:31], v[20:21]
	v_add_f64 v[6:7], v[10:11], v[6:7]
	v_fma_f64 v[10:11], v[78:79], s[46:47], v[26:27]
	v_add_f64 v[4:5], v[14:15], v[4:5]
	;; [unrolled: 2-line block ×3, first 2 shown]
	v_mul_f64 v[26:27], v[106:107], s[22:23]
	v_add_f64 v[20:21], v[20:21], v[46:47]
	v_mul_f64 v[130:131], v[62:63], s[42:43]
	v_mul_f64 v[46:47], v[94:95], s[40:41]
	v_add_f64 v[8:9], v[10:11], v[8:9]
	v_fma_f64 v[10:11], v[72:73], s[18:19], v[28:29]
	v_add_f64 v[12:13], v[14:15], v[12:13]
	v_fma_f64 v[14:15], v[72:73], s[18:19], -v[28:29]
	v_mul_f64 v[28:29], v[104:105], s[6:7]
	v_add_f64 v[6:7], v[10:11], v[6:7]
	v_fma_f64 v[10:11], v[74:75], s[54:55], v[30:31]
	v_add_f64 v[4:5], v[14:15], v[4:5]
	v_fma_f64 v[14:15], v[74:75], s[26:27], v[30:31]
	v_mul_f64 v[30:31], v[102:103], s[48:49]
	v_add_f64 v[8:9], v[10:11], v[8:9]
	v_fma_f64 v[10:11], v[68:69], s[16:17], v[40:41]
	v_add_f64 v[12:13], v[14:15], v[12:13]
	v_fma_f64 v[14:15], v[68:69], s[16:17], -v[40:41]
	v_mul_f64 v[40:41], v[94:95], s[46:47]
	v_add_f64 v[6:7], v[10:11], v[6:7]
	v_fma_f64 v[10:11], v[70:71], s[48:49], v[42:43]
	v_add_f64 v[4:5], v[14:15], v[4:5]
	v_fma_f64 v[14:15], v[70:71], s[24:25], v[42:43]
	v_mul_f64 v[42:43], v[88:89], s[20:21]
	v_add_f64 v[10:11], v[10:11], v[8:9]
	v_fma_f64 v[8:9], v[64:65], s[6:7], v[44:45]
	v_add_f64 v[12:13], v[14:15], v[12:13]
	v_fma_f64 v[14:15], v[64:65], s[6:7], -v[44:45]
	v_mul_f64 v[44:45], v[84:85], s[44:45]
	v_add_f64 v[8:9], v[8:9], v[6:7]
	v_mul_f64 v[6:7], v[60:61], s[6:7]
	v_add_f64 v[4:5], v[14:15], v[4:5]
	v_fma_f64 v[161:162], v[66:67], s[52:53], v[6:7]
	v_fma_f64 v[6:7], v[66:67], s[22:23], v[6:7]
	v_add_f64 v[10:11], v[161:162], v[10:11]
	v_add_f64 v[6:7], v[6:7], v[12:13]
	v_mul_f64 v[12:13], v[114:115], s[30:31]
	v_fma_f64 v[14:15], v[96:97], s[4:5], v[12:13]
	v_fma_f64 v[12:13], v[96:97], s[4:5], -v[12:13]
	v_add_f64 v[14:15], v[14:15], v[32:33]
	v_add_f64 v[12:13], v[12:13], v[132:133]
	v_mul_f64 v[32:33], v[100:101], s[16:17]
	v_mul_f64 v[132:133], v[80:81], s[4:5]
	v_add_f64 v[14:15], v[18:19], v[14:15]
	v_fma_f64 v[18:19], v[92:93], s[54:55], v[24:25]
	v_add_f64 v[12:13], v[22:23], v[12:13]
	v_fma_f64 v[22:23], v[92:93], s[26:27], v[24:25]
	;; [unrolled: 2-line block ×3, first 2 shown]
	v_add_f64 v[20:21], v[22:23], v[20:21]
	v_fma_f64 v[22:23], v[82:83], s[6:7], -v[26:27]
	v_add_f64 v[14:15], v[18:19], v[14:15]
	v_fma_f64 v[18:19], v[86:87], s[52:53], v[28:29]
	v_add_f64 v[12:13], v[22:23], v[12:13]
	v_fma_f64 v[22:23], v[86:87], s[22:23], v[28:29]
	v_mul_f64 v[28:29], v[112:113], s[18:19]
	v_add_f64 v[16:17], v[18:19], v[16:17]
	v_fma_f64 v[18:19], v[76:77], s[16:17], v[30:31]
	v_add_f64 v[20:21], v[22:23], v[20:21]
	v_fma_f64 v[22:23], v[76:77], s[16:17], -v[30:31]
	v_mul_f64 v[30:31], v[110:111], s[52:53]
	v_fma_f64 v[24:25], v[98:99], s[54:55], v[28:29]
	v_fma_f64 v[28:29], v[98:99], s[26:27], v[28:29]
	v_add_f64 v[14:15], v[18:19], v[14:15]
	v_fma_f64 v[18:19], v[78:79], s[24:25], v[32:33]
	v_add_f64 v[12:13], v[22:23], v[12:13]
	v_fma_f64 v[22:23], v[78:79], s[48:49], v[32:33]
	v_fma_f64 v[26:27], v[90:91], s[6:7], v[30:31]
	v_mul_f64 v[32:33], v[108:109], s[6:7]
	v_add_f64 v[24:25], v[24:25], v[134:135]
	v_fma_f64 v[30:31], v[90:91], s[6:7], -v[30:31]
	v_add_f64 v[28:29], v[28:29], v[48:49]
	v_mul_f64 v[134:135], v[62:63], s[24:25]
	v_mul_f64 v[48:49], v[102:103], s[34:35]
	v_add_f64 v[16:17], v[18:19], v[16:17]
	v_fma_f64 v[18:19], v[72:73], s[20:21], v[40:41]
	v_add_f64 v[20:21], v[22:23], v[20:21]
	v_fma_f64 v[22:23], v[72:73], s[20:21], -v[40:41]
	v_mul_f64 v[40:41], v[104:105], s[20:21]
	v_add_f64 v[14:15], v[18:19], v[14:15]
	v_fma_f64 v[18:19], v[74:75], s[28:29], v[42:43]
	v_add_f64 v[12:13], v[22:23], v[12:13]
	v_fma_f64 v[22:23], v[74:75], s[46:47], v[42:43]
	v_mul_f64 v[42:43], v[102:103], s[50:51]
	v_add_f64 v[16:17], v[18:19], v[16:17]
	v_fma_f64 v[18:19], v[68:69], s[8:9], v[44:45]
	v_add_f64 v[20:21], v[22:23], v[20:21]
	v_fma_f64 v[22:23], v[68:69], s[8:9], -v[44:45]
	v_mul_f64 v[44:45], v[100:101], s[14:15]
	v_add_f64 v[14:15], v[18:19], v[14:15]
	v_fma_f64 v[18:19], v[70:71], s[34:35], v[58:59]
	v_add_f64 v[12:13], v[22:23], v[12:13]
	v_fma_f64 v[22:23], v[70:71], s[44:45], v[58:59]
	v_mul_f64 v[58:59], v[88:89], s[38:39]
	v_add_f64 v[18:19], v[18:19], v[16:17]
	v_fma_f64 v[16:17], v[64:65], s[38:39], v[130:131]
	v_add_f64 v[20:21], v[22:23], v[20:21]
	v_fma_f64 v[22:23], v[64:65], s[38:39], -v[130:131]
	v_mul_f64 v[130:131], v[84:85], s[30:31]
	v_add_f64 v[16:17], v[16:17], v[14:15]
	v_mul_f64 v[14:15], v[60:61], s[38:39]
	v_add_f64 v[12:13], v[22:23], v[12:13]
	v_fma_f64 v[161:162], v[66:67], s[40:41], v[14:15]
	v_fma_f64 v[14:15], v[66:67], s[42:43], v[14:15]
	v_add_f64 v[18:19], v[161:162], v[18:19]
	v_add_f64 v[14:15], v[14:15], v[20:21]
	v_mul_f64 v[20:21], v[114:115], s[26:27]
	v_fma_f64 v[22:23], v[96:97], s[18:19], v[20:21]
	v_fma_f64 v[20:21], v[96:97], s[18:19], -v[20:21]
	v_add_f64 v[22:23], v[22:23], v[34:35]
	v_mul_f64 v[34:35], v[106:107], s[46:47]
	v_add_f64 v[20:21], v[20:21], v[145:146]
	v_mul_f64 v[145:146], v[62:63], s[50:51]
	v_add_f64 v[22:23], v[26:27], v[22:23]
	v_fma_f64 v[26:27], v[92:93], s[22:23], v[32:33]
	v_add_f64 v[20:21], v[30:31], v[20:21]
	v_fma_f64 v[30:31], v[92:93], s[52:53], v[32:33]
	;; [unrolled: 2-line block ×3, first 2 shown]
	v_add_f64 v[28:29], v[30:31], v[28:29]
	v_fma_f64 v[30:31], v[82:83], s[20:21], -v[34:35]
	v_add_f64 v[22:23], v[26:27], v[22:23]
	v_fma_f64 v[26:27], v[86:87], s[28:29], v[40:41]
	v_add_f64 v[20:21], v[30:31], v[20:21]
	v_fma_f64 v[30:31], v[86:87], s[46:47], v[40:41]
	v_mul_f64 v[40:41], v[110:111], s[46:47]
	v_add_f64 v[24:25], v[26:27], v[24:25]
	v_fma_f64 v[26:27], v[76:77], s[14:15], v[42:43]
	v_add_f64 v[28:29], v[30:31], v[28:29]
	v_fma_f64 v[30:31], v[76:77], s[14:15], -v[42:43]
	v_fma_f64 v[34:35], v[90:91], s[20:21], v[40:41]
	v_mul_f64 v[42:43], v[108:109], s[20:21]
	v_fma_f64 v[40:41], v[90:91], s[20:21], -v[40:41]
	v_add_f64 v[22:23], v[26:27], v[22:23]
	v_fma_f64 v[26:27], v[78:79], s[36:37], v[44:45]
	v_add_f64 v[20:21], v[30:31], v[20:21]
	v_fma_f64 v[30:31], v[78:79], s[50:51], v[44:45]
	v_mul_f64 v[44:45], v[106:107], s[42:43]
	v_add_f64 v[24:25], v[26:27], v[24:25]
	v_fma_f64 v[26:27], v[72:73], s[38:39], v[46:47]
	v_add_f64 v[28:29], v[30:31], v[28:29]
	v_fma_f64 v[30:31], v[72:73], s[38:39], -v[46:47]
	v_mul_f64 v[46:47], v[104:105], s[38:39]
	v_add_f64 v[22:23], v[26:27], v[22:23]
	v_fma_f64 v[26:27], v[74:75], s[42:43], v[58:59]
	v_add_f64 v[20:21], v[30:31], v[20:21]
	v_fma_f64 v[30:31], v[74:75], s[40:41], v[58:59]
	v_mul_f64 v[58:59], v[100:101], s[8:9]
	v_add_f64 v[24:25], v[26:27], v[24:25]
	v_fma_f64 v[26:27], v[68:69], s[4:5], v[130:131]
	v_add_f64 v[28:29], v[30:31], v[28:29]
	v_fma_f64 v[30:31], v[68:69], s[4:5], -v[130:131]
	v_mul_f64 v[130:131], v[88:89], s[16:17]
	v_add_f64 v[22:23], v[26:27], v[22:23]
	v_fma_f64 v[26:27], v[70:71], s[56:57], v[132:133]
	v_add_f64 v[20:21], v[30:31], v[20:21]
	v_fma_f64 v[30:31], v[70:71], s[30:31], v[132:133]
	v_mul_f64 v[132:133], v[84:85], s[54:55]
	v_add_f64 v[26:27], v[26:27], v[24:25]
	v_fma_f64 v[24:25], v[64:65], s[16:17], v[134:135]
	v_add_f64 v[28:29], v[30:31], v[28:29]
	v_fma_f64 v[30:31], v[64:65], s[16:17], -v[134:135]
	v_mul_f64 v[134:135], v[80:81], s[18:19]
	v_add_f64 v[24:25], v[24:25], v[22:23]
	v_mul_f64 v[22:23], v[60:61], s[16:17]
	v_add_f64 v[20:21], v[30:31], v[20:21]
	v_fma_f64 v[161:162], v[66:67], s[48:49], v[22:23]
	v_fma_f64 v[22:23], v[66:67], s[24:25], v[22:23]
	v_add_f64 v[26:27], v[161:162], v[26:27]
	v_add_f64 v[22:23], v[22:23], v[28:29]
	v_mul_f64 v[28:29], v[114:115], s[22:23]
	v_fma_f64 v[30:31], v[96:97], s[6:7], v[28:29]
	v_fma_f64 v[28:29], v[96:97], s[6:7], -v[28:29]
	v_add_f64 v[30:31], v[30:31], v[36:37]
	v_mul_f64 v[36:37], v[112:113], s[6:7]
	v_add_f64 v[28:29], v[28:29], v[147:148]
	v_mul_f64 v[147:148], v[62:63], s[26:27]
	v_add_f64 v[30:31], v[34:35], v[30:31]
	v_fma_f64 v[32:33], v[98:99], s[52:53], v[36:37]
	v_fma_f64 v[34:35], v[92:93], s[28:29], v[42:43]
	;; [unrolled: 1-line block ×3, first 2 shown]
	v_add_f64 v[28:29], v[40:41], v[28:29]
	v_fma_f64 v[40:41], v[92:93], s[46:47], v[42:43]
	v_add_f64 v[32:33], v[32:33], v[120:121]
	v_mul_f64 v[120:121], v[94:95], s[24:25]
	v_add_f64 v[36:37], v[36:37], v[50:51]
	v_mul_f64 v[50:51], v[106:107], s[34:35]
	v_add_f64 v[32:33], v[34:35], v[32:33]
	v_fma_f64 v[34:35], v[82:83], s[38:39], v[44:45]
	v_add_f64 v[36:37], v[40:41], v[36:37]
	v_fma_f64 v[40:41], v[82:83], s[38:39], -v[44:45]
	v_mul_f64 v[44:45], v[112:113], s[16:17]
	v_add_f64 v[30:31], v[34:35], v[30:31]
	v_fma_f64 v[34:35], v[86:87], s[40:41], v[46:47]
	v_add_f64 v[28:29], v[40:41], v[28:29]
	v_fma_f64 v[40:41], v[86:87], s[42:43], v[46:47]
	v_mul_f64 v[46:47], v[110:111], s[50:51]
	v_add_f64 v[32:33], v[34:35], v[32:33]
	v_fma_f64 v[34:35], v[76:77], s[8:9], v[48:49]
	v_add_f64 v[36:37], v[40:41], v[36:37]
	v_fma_f64 v[40:41], v[76:77], s[8:9], -v[48:49]
	v_fma_f64 v[42:43], v[90:91], s[14:15], v[46:47]
	v_mul_f64 v[48:49], v[108:109], s[14:15]
	v_fma_f64 v[46:47], v[90:91], s[14:15], -v[46:47]
	v_add_f64 v[30:31], v[34:35], v[30:31]
	v_fma_f64 v[34:35], v[78:79], s[44:45], v[58:59]
	v_add_f64 v[28:29], v[40:41], v[28:29]
	v_fma_f64 v[40:41], v[78:79], s[34:35], v[58:59]
	v_mul_f64 v[58:59], v[104:105], s[8:9]
	v_add_f64 v[32:33], v[34:35], v[32:33]
	v_fma_f64 v[34:35], v[72:73], s[16:17], v[120:121]
	v_add_f64 v[36:37], v[40:41], v[36:37]
	v_fma_f64 v[40:41], v[72:73], s[16:17], -v[120:121]
	v_mul_f64 v[120:121], v[102:103], s[22:23]
	v_add_f64 v[30:31], v[34:35], v[30:31]
	v_fma_f64 v[34:35], v[74:75], s[48:49], v[130:131]
	v_add_f64 v[28:29], v[40:41], v[28:29]
	v_fma_f64 v[40:41], v[74:75], s[24:25], v[130:131]
	v_mul_f64 v[130:131], v[94:95], s[56:57]
	v_add_f64 v[32:33], v[34:35], v[32:33]
	v_fma_f64 v[34:35], v[68:69], s[18:19], v[132:133]
	v_add_f64 v[36:37], v[40:41], v[36:37]
	v_fma_f64 v[40:41], v[68:69], s[18:19], -v[132:133]
	v_mul_f64 v[132:133], v[88:89], s[4:5]
	;; [unrolled: 10-line block ×3, first 2 shown]
	v_add_f64 v[32:33], v[32:33], v[30:31]
	v_mul_f64 v[30:31], v[60:61], s[14:15]
	v_add_f64 v[28:29], v[40:41], v[28:29]
	v_fma_f64 v[161:162], v[66:67], s[36:37], v[30:31]
	v_fma_f64 v[30:31], v[66:67], s[50:51], v[30:31]
	v_add_f64 v[34:35], v[161:162], v[34:35]
	v_add_f64 v[30:31], v[30:31], v[36:37]
	v_mul_f64 v[36:37], v[114:115], s[48:49]
	v_fma_f64 v[40:41], v[96:97], s[16:17], v[36:37]
	v_fma_f64 v[36:37], v[96:97], s[16:17], -v[36:37]
	v_add_f64 v[38:39], v[40:41], v[38:39]
	v_fma_f64 v[40:41], v[98:99], s[24:25], v[44:45]
	v_add_f64 v[36:37], v[36:37], v[149:150]
	v_fma_f64 v[44:45], v[98:99], s[48:49], v[44:45]
	v_add_f64 v[38:39], v[42:43], v[38:39]
	v_add_f64 v[40:41], v[40:41], v[122:123]
	v_fma_f64 v[42:43], v[92:93], s[36:37], v[48:49]
	v_add_f64 v[44:45], v[44:45], v[52:53]
	v_add_f64 v[36:37], v[46:47], v[36:37]
	v_fma_f64 v[46:47], v[92:93], s[50:51], v[48:49]
	v_mul_f64 v[122:123], v[100:101], s[6:7]
	v_mul_f64 v[48:49], v[114:115], s[46:47]
	v_mul_f64 v[52:53], v[110:111], s[40:41]
	v_add_f64 v[40:41], v[42:43], v[40:41]
	v_fma_f64 v[42:43], v[82:83], s[8:9], v[50:51]
	v_add_f64 v[44:45], v[46:47], v[44:45]
	v_fma_f64 v[46:47], v[82:83], s[8:9], -v[50:51]
	v_mul_f64 v[50:51], v[112:113], s[20:21]
	v_add_f64 v[38:39], v[42:43], v[38:39]
	v_fma_f64 v[42:43], v[86:87], s[44:45], v[58:59]
	v_add_f64 v[36:37], v[46:47], v[36:37]
	v_fma_f64 v[46:47], v[86:87], s[34:35], v[58:59]
	v_fma_f64 v[58:59], v[90:91], s[38:39], v[52:53]
	v_fma_f64 v[52:53], v[90:91], s[38:39], -v[52:53]
	v_add_f64 v[40:41], v[42:43], v[40:41]
	v_fma_f64 v[42:43], v[76:77], s[6:7], v[120:121]
	v_add_f64 v[44:45], v[46:47], v[44:45]
	v_fma_f64 v[46:47], v[76:77], s[6:7], -v[120:121]
	v_add_f64 v[38:39], v[42:43], v[38:39]
	v_fma_f64 v[42:43], v[78:79], s[52:53], v[122:123]
	v_add_f64 v[36:37], v[46:47], v[36:37]
	v_fma_f64 v[46:47], v[78:79], s[22:23], v[122:123]
	v_add_f64 v[40:41], v[42:43], v[40:41]
	v_fma_f64 v[42:43], v[72:73], s[4:5], v[130:131]
	v_add_f64 v[44:45], v[46:47], v[44:45]
	v_fma_f64 v[46:47], v[72:73], s[4:5], -v[130:131]
	v_add_f64 v[38:39], v[42:43], v[38:39]
	v_fma_f64 v[42:43], v[74:75], s[30:31], v[132:133]
	v_add_f64 v[36:37], v[46:47], v[36:37]
	v_fma_f64 v[46:47], v[74:75], s[56:57], v[132:133]
	;; [unrolled: 8-line block ×3, first 2 shown]
	v_add_f64 v[42:43], v[42:43], v[40:41]
	v_fma_f64 v[40:41], v[64:65], s[18:19], v[147:148]
	v_add_f64 v[44:45], v[46:47], v[44:45]
	v_fma_f64 v[46:47], v[64:65], s[18:19], -v[147:148]
	v_add_f64 v[40:41], v[40:41], v[38:39]
	v_mul_f64 v[38:39], v[60:61], s[18:19]
	v_add_f64 v[36:37], v[46:47], v[36:37]
	v_fma_f64 v[46:47], v[98:99], s[28:29], v[50:51]
	v_fma_f64 v[50:51], v[98:99], s[46:47], v[50:51]
	;; [unrolled: 1-line block ×4, first 2 shown]
	v_add_f64 v[46:47], v[46:47], v[124:125]
	v_add_f64 v[50:51], v[50:51], v[54:55]
	;; [unrolled: 1-line block ×4, first 2 shown]
	v_fma_f64 v[44:45], v[96:97], s[20:21], v[48:49]
	v_fma_f64 v[48:49], v[96:97], s[20:21], -v[48:49]
	v_add_f64 v[44:45], v[44:45], v[151:152]
	v_add_f64 v[48:49], v[48:49], v[153:154]
	;; [unrolled: 1-line block ×3, first 2 shown]
	v_mul_f64 v[58:59], v[108:109], s[38:39]
	v_add_f64 v[48:49], v[52:53], v[48:49]
	v_fma_f64 v[120:121], v[92:93], s[42:43], v[58:59]
	v_fma_f64 v[52:53], v[92:93], s[40:41], v[58:59]
	v_mul_f64 v[58:59], v[114:115], s[44:45]
	v_mul_f64 v[114:115], v[114:115], s[42:43]
	v_add_f64 v[46:47], v[120:121], v[46:47]
	v_mul_f64 v[120:121], v[106:107], s[24:25]
	v_add_f64 v[50:51], v[52:53], v[50:51]
	v_fma_f64 v[122:123], v[82:83], s[16:17], v[120:121]
	v_fma_f64 v[52:53], v[82:83], s[16:17], -v[120:121]
	v_mul_f64 v[120:121], v[112:113], s[8:9]
	v_mul_f64 v[112:113], v[112:113], s[38:39]
	v_add_f64 v[44:45], v[122:123], v[44:45]
	v_mul_f64 v[122:123], v[104:105], s[16:17]
	v_add_f64 v[48:49], v[52:53], v[48:49]
	v_fma_f64 v[124:125], v[86:87], s[48:49], v[122:123]
	v_fma_f64 v[52:53], v[86:87], s[24:25], v[122:123]
	v_mul_f64 v[122:123], v[110:111], s[30:31]
	v_mul_f64 v[110:111], v[110:111], s[24:25]
	v_add_f64 v[46:47], v[124:125], v[46:47]
	v_mul_f64 v[124:125], v[102:103], s[56:57]
	v_add_f64 v[50:51], v[52:53], v[50:51]
	v_fma_f64 v[130:131], v[76:77], s[4:5], v[124:125]
	v_fma_f64 v[52:53], v[76:77], s[4:5], -v[124:125]
	v_fma_f64 v[124:125], v[90:91], s[4:5], v[122:123]
	v_add_f64 v[44:45], v[130:131], v[44:45]
	v_mul_f64 v[130:131], v[100:101], s[4:5]
	v_add_f64 v[48:49], v[52:53], v[48:49]
	v_fma_f64 v[132:133], v[78:79], s[30:31], v[130:131]
	v_fma_f64 v[52:53], v[78:79], s[56:57], v[130:131]
	v_add_f64 v[46:47], v[132:133], v[46:47]
	v_mul_f64 v[132:133], v[94:95], s[36:37]
	v_add_f64 v[50:51], v[52:53], v[50:51]
	v_fma_f64 v[134:135], v[72:73], s[14:15], v[132:133]
	v_fma_f64 v[52:53], v[72:73], s[14:15], -v[132:133]
	v_add_f64 v[44:45], v[134:135], v[44:45]
	v_mul_f64 v[134:135], v[88:89], s[14:15]
	v_add_f64 v[48:49], v[52:53], v[48:49]
	v_fma_f64 v[145:146], v[74:75], s[50:51], v[134:135]
	v_fma_f64 v[52:53], v[74:75], s[36:37], v[134:135]
	v_add_f64 v[46:47], v[145:146], v[46:47]
	v_mul_f64 v[145:146], v[84:85], s[22:23]
	v_add_f64 v[50:51], v[52:53], v[50:51]
	v_fma_f64 v[147:148], v[68:69], s[6:7], v[145:146]
	v_fma_f64 v[52:53], v[68:69], s[6:7], -v[145:146]
	;; [unrolled: 10-line block ×3, first 2 shown]
	v_add_f64 v[44:45], v[151:152], v[44:45]
	v_mul_f64 v[151:152], v[60:61], s[8:9]
	v_add_f64 v[48:49], v[52:53], v[48:49]
	v_fma_f64 v[52:53], v[96:97], s[8:9], v[58:59]
	v_fma_f64 v[58:59], v[96:97], s[8:9], -v[58:59]
	v_fma_f64 v[54:55], v[66:67], s[44:45], v[151:152]
	v_fma_f64 v[161:162], v[66:67], s[34:35], v[151:152]
	v_add_f64 v[52:53], v[52:53], v[155:156]
	v_add_f64 v[58:59], v[58:59], v[157:158]
	;; [unrolled: 1-line block ×3, first 2 shown]
	v_fma_f64 v[54:55], v[98:99], s[34:35], v[120:121]
	v_add_f64 v[52:53], v[124:125], v[52:53]
	v_mul_f64 v[124:125], v[108:109], s[4:5]
	v_fma_f64 v[120:121], v[98:99], s[44:45], v[120:121]
	v_mul_f64 v[108:109], v[108:109], s[16:17]
	v_add_f64 v[46:47], v[161:162], v[46:47]
	v_add_f64 v[54:55], v[54:55], v[126:127]
	v_fma_f64 v[126:127], v[92:93], s[56:57], v[124:125]
	v_add_f64 v[56:57], v[120:121], v[56:57]
	v_fma_f64 v[120:121], v[90:91], s[4:5], -v[122:123]
	v_add_f64 v[54:55], v[126:127], v[54:55]
	v_mul_f64 v[126:127], v[106:107], s[54:55]
	v_add_f64 v[58:59], v[120:121], v[58:59]
	v_fma_f64 v[120:121], v[92:93], s[30:31], v[124:125]
	v_fma_f64 v[124:125], v[90:91], s[16:17], v[110:111]
	v_mul_f64 v[106:107], v[106:107], s[50:51]
	v_fma_f64 v[90:91], v[90:91], s[16:17], -v[110:111]
	v_fma_f64 v[130:131], v[82:83], s[18:19], v[126:127]
	v_add_f64 v[56:57], v[120:121], v[56:57]
	v_fma_f64 v[120:121], v[82:83], s[18:19], -v[126:127]
	v_mul_f64 v[126:127], v[60:61], s[4:5]
	v_add_f64 v[52:53], v[130:131], v[52:53]
	v_mul_f64 v[130:131], v[104:105], s[18:19]
	v_mul_f64 v[104:105], v[104:105], s[14:15]
	v_add_f64 v[58:59], v[120:121], v[58:59]
	v_fma_f64 v[132:133], v[86:87], s[26:27], v[130:131]
	v_fma_f64 v[120:121], v[86:87], s[54:55], v[130:131]
	v_add_f64 v[54:55], v[132:133], v[54:55]
	v_mul_f64 v[132:133], v[102:103], s[40:41]
	v_add_f64 v[56:57], v[120:121], v[56:57]
	v_mul_f64 v[102:103], v[102:103], s[26:27]
	v_fma_f64 v[134:135], v[76:77], s[38:39], v[132:133]
	v_fma_f64 v[120:121], v[76:77], s[38:39], -v[132:133]
	v_add_f64 v[52:53], v[134:135], v[52:53]
	v_mul_f64 v[134:135], v[100:101], s[38:39]
	v_add_f64 v[58:59], v[120:121], v[58:59]
	v_mul_f64 v[100:101], v[100:101], s[18:19]
	v_fma_f64 v[145:146], v[78:79], s[42:43], v[134:135]
	v_fma_f64 v[120:121], v[78:79], s[40:41], v[134:135]
	v_add_f64 v[54:55], v[145:146], v[54:55]
	v_mul_f64 v[145:146], v[94:95], s[22:23]
	v_add_f64 v[56:57], v[120:121], v[56:57]
	v_mul_f64 v[94:95], v[94:95], s[44:45]
	v_fma_f64 v[147:148], v[72:73], s[6:7], v[145:146]
	v_fma_f64 v[120:121], v[72:73], s[6:7], -v[145:146]
	v_add_f64 v[52:53], v[147:148], v[52:53]
	v_mul_f64 v[147:148], v[88:89], s[6:7]
	v_add_f64 v[58:59], v[120:121], v[58:59]
	v_mul_f64 v[88:89], v[88:89], s[8:9]
	;; [unrolled: 12-line block ×3, first 2 shown]
	v_fma_f64 v[153:154], v[70:71], s[36:37], v[151:152]
	v_fma_f64 v[120:121], v[70:71], s[50:51], v[151:152]
	v_add_f64 v[54:55], v[153:154], v[54:55]
	v_mul_f64 v[153:154], v[62:63], s[28:29]
	v_add_f64 v[120:121], v[120:121], v[56:57]
	v_fma_f64 v[155:156], v[64:65], s[20:21], v[153:154]
	v_fma_f64 v[56:57], v[64:65], s[20:21], -v[153:154]
	v_add_f64 v[52:53], v[155:156], v[52:53]
	v_mul_f64 v[155:156], v[60:61], s[20:21]
	v_add_f64 v[56:57], v[56:57], v[58:59]
	v_fma_f64 v[122:123], v[66:67], s[28:29], v[155:156]
	v_fma_f64 v[161:162], v[66:67], s[46:47], v[155:156]
	v_add_f64 v[58:59], v[122:123], v[120:121]
	v_fma_f64 v[120:121], v[96:97], s[38:39], v[114:115]
	v_fma_f64 v[122:123], v[98:99], s[40:41], v[112:113]
	v_fma_f64 v[96:97], v[96:97], s[38:39], -v[114:115]
	v_fma_f64 v[98:99], v[98:99], s[42:43], v[112:113]
	v_add_f64 v[54:55], v[161:162], v[54:55]
	v_add_f64 v[120:121], v[120:121], v[159:160]
	;; [unrolled: 1-line block ×6, first 2 shown]
	v_fma_f64 v[124:125], v[92:93], s[48:49], v[108:109]
	v_fma_f64 v[92:93], v[92:93], s[24:25], v[108:109]
	v_add_f64 v[90:91], v[90:91], v[96:97]
	v_add_f64 v[122:123], v[124:125], v[122:123]
	v_fma_f64 v[124:125], v[82:83], s[14:15], v[106:107]
	v_fma_f64 v[82:83], v[82:83], s[14:15], -v[106:107]
	v_add_f64 v[92:93], v[92:93], v[98:99]
	v_add_f64 v[120:121], v[124:125], v[120:121]
	v_fma_f64 v[124:125], v[86:87], s[36:37], v[104:105]
	v_fma_f64 v[86:87], v[86:87], s[50:51], v[104:105]
	v_add_f64 v[82:83], v[82:83], v[90:91]
	v_add_f64 v[122:123], v[124:125], v[122:123]
	v_fma_f64 v[124:125], v[76:77], s[18:19], v[102:103]
	v_fma_f64 v[76:77], v[76:77], s[18:19], -v[102:103]
	v_add_f64 v[86:87], v[86:87], v[92:93]
	v_add_f64 v[120:121], v[124:125], v[120:121]
	;; [unrolled: 8-line block ×4, first 2 shown]
	v_fma_f64 v[124:125], v[70:71], s[46:47], v[80:81]
	v_fma_f64 v[70:71], v[70:71], s[28:29], v[80:81]
	v_add_f64 v[68:69], v[68:69], v[72:73]
	v_add_f64 v[122:123], v[124:125], v[122:123]
	v_mul_f64 v[124:125], v[62:63], s[56:57]
	v_fma_f64 v[62:63], v[66:67], s[30:31], v[126:127]
	v_fma_f64 v[66:67], v[66:67], s[56:57], v[126:127]
	v_add_f64 v[70:71], v[70:71], v[74:75]
	v_fma_f64 v[60:61], v[64:65], s[4:5], v[124:125]
	v_fma_f64 v[64:65], v[64:65], s[4:5], -v[124:125]
	v_add_f64 v[62:63], v[62:63], v[122:123]
	v_add_f64 v[66:67], v[66:67], v[70:71]
	;; [unrolled: 1-line block ×4, first 2 shown]
	v_mul_u32_u24_e32 v68, 0x110, v138
	v_add3_u32 v145, 0, v68, v144
	ds_read_b128 v[68:71], v139 offset:272
	ds_read_b128 v[72:75], v139 offset:656
	;; [unrolled: 1-line block ×17, first 2 shown]
	s_waitcnt lgkmcnt(0)
	s_barrier
	buffer_gl0_inv
	ds_write_b128 v145, v[8:11] offset:16
	ds_write_b128 v145, v[16:19] offset:32
	;; [unrolled: 1-line block ×16, first 2 shown]
	ds_write_b128 v145, v[0:3]
	v_cmpx_gt_u32_e32 7, v138
	s_cbranch_execz .LBB0_20
; %bb.19:
	v_add_f64 v[0:1], v[70:71], v[74:75]
	v_add_f64 v[2:3], v[68:69], v[72:73]
	v_add_f64 v[66:67], v[92:93], -v[100:101]
	v_add_f64 v[54:55], v[92:93], v[100:101]
	v_add_f64 v[64:65], v[82:83], v[98:99]
	;; [unrolled: 1-line block ×4, first 2 shown]
	v_add_f64 v[60:61], v[94:95], -v[102:103]
	v_add_f64 v[58:59], v[104:105], -v[108:109]
	v_add_f64 v[48:49], v[106:107], v[110:111]
	v_add_f64 v[52:53], v[106:107], -v[110:111]
	v_add_f64 v[46:47], v[104:105], v[108:109]
	;; [unrolled: 2-line block ×5, first 2 shown]
	v_add_f64 v[36:37], v[126:127], -v[122:123]
	v_add_f64 v[28:29], v[132:133], -v[128:129]
	;; [unrolled: 1-line block ×3, first 2 shown]
	v_add_f64 v[32:33], v[124:125], v[120:121]
	v_add_f64 v[0:1], v[0:1], v[78:79]
	;; [unrolled: 1-line block ×5, first 2 shown]
	v_mul_f64 v[147:148], v[28:29], s[50:51]
	v_mul_f64 v[149:150], v[30:31], s[50:51]
	;; [unrolled: 1-line block ×3, first 2 shown]
	v_add_f64 v[0:1], v[0:1], v[82:83]
	v_add_f64 v[2:3], v[2:3], v[80:81]
	v_mul_f64 v[157:158], v[30:31], s[24:25]
	v_mul_f64 v[163:164], v[28:29], s[42:43]
	;; [unrolled: 1-line block ×3, first 2 shown]
	v_add_f64 v[0:1], v[0:1], v[94:95]
	v_add_f64 v[2:3], v[2:3], v[92:93]
	v_add_f64 v[92:93], v[80:81], -v[96:97]
	v_add_f64 v[80:81], v[82:83], -v[98:99]
	v_add_f64 v[82:83], v[78:79], v[90:91]
	v_add_f64 v[78:79], v[78:79], -v[90:91]
	v_add_f64 v[94:95], v[76:77], -v[88:89]
	v_add_f64 v[76:77], v[76:77], v[88:89]
	v_add_f64 v[0:1], v[0:1], v[106:107]
	;; [unrolled: 1-line block ×3, first 2 shown]
	v_mul_f64 v[106:107], v[28:29], s[56:57]
	v_mul_f64 v[14:15], v[78:79], s[42:43]
	;; [unrolled: 1-line block ×3, first 2 shown]
	v_add_f64 v[0:1], v[0:1], v[114:115]
	v_add_f64 v[2:3], v[2:3], v[112:113]
	v_mul_f64 v[114:115], v[28:29], s[28:29]
	v_fma_f64 v[16:17], v[76:77], s[38:39], -v[14:15]
	v_fma_f64 v[6:7], v[82:83], s[38:39], v[10:11]
	v_fma_f64 v[10:11], v[82:83], s[38:39], -v[10:11]
	v_add_f64 v[0:1], v[0:1], v[126:127]
	v_add_f64 v[2:3], v[2:3], v[124:125]
	v_mul_f64 v[124:125], v[30:31], s[44:45]
	v_add_f64 v[0:1], v[0:1], v[134:135]
	v_add_f64 v[2:3], v[2:3], v[132:133]
	v_mul_f64 v[132:133], v[30:31], s[26:27]
	;; [unrolled: 3-line block ×6, first 2 shown]
	v_add_f64 v[0:1], v[0:1], v[102:103]
	v_add_f64 v[2:3], v[2:3], v[100:101]
	;; [unrolled: 1-line block ×5, first 2 shown]
	v_add_f64 v[90:91], v[72:73], -v[84:85]
	v_add_f64 v[4:5], v[2:3], v[88:89]
	v_add_f64 v[88:89], v[74:75], v[86:87]
	v_add_f64 v[74:75], v[74:75], -v[86:87]
	v_add_f64 v[72:73], v[72:73], v[84:85]
	v_add_f64 v[2:3], v[0:1], v[86:87]
	v_mul_f64 v[8:9], v[90:91], s[22:23]
	v_add_f64 v[0:1], v[4:5], v[84:85]
	v_mul_f64 v[12:13], v[74:75], s[22:23]
	v_fma_f64 v[4:5], v[88:89], s[6:7], v[8:9]
	v_fma_f64 v[8:9], v[88:89], s[6:7], -v[8:9]
	v_add_f64 v[4:5], v[70:71], v[4:5]
	v_add_f64 v[8:9], v[70:71], v[8:9]
	;; [unrolled: 1-line block ×3, first 2 shown]
	v_fma_f64 v[6:7], v[72:73], s[6:7], -v[12:13]
	v_add_f64 v[8:9], v[10:11], v[8:9]
	v_fma_f64 v[10:11], v[72:73], s[6:7], v[12:13]
	v_fma_f64 v[12:13], v[76:77], s[38:39], v[14:15]
	;; [unrolled: 1-line block ×3, first 2 shown]
	v_add_f64 v[6:7], v[68:69], v[6:7]
	v_add_f64 v[10:11], v[68:69], v[10:11]
	;; [unrolled: 1-line block ×3, first 2 shown]
	v_mul_f64 v[16:17], v[92:93], s[24:25]
	v_add_f64 v[10:11], v[12:13], v[10:11]
	v_fma_f64 v[18:19], v[64:65], s[16:17], v[16:17]
	v_fma_f64 v[12:13], v[64:65], s[16:17], -v[16:17]
	v_mul_f64 v[16:17], v[90:91], s[24:25]
	v_add_f64 v[4:5], v[18:19], v[4:5]
	v_mul_f64 v[18:19], v[80:81], s[24:25]
	v_add_f64 v[8:9], v[12:13], v[8:9]
	v_fma_f64 v[20:21], v[62:63], s[16:17], -v[18:19]
	v_fma_f64 v[12:13], v[62:63], s[16:17], v[18:19]
	v_mul_f64 v[18:19], v[94:95], s[44:45]
	v_add_f64 v[6:7], v[20:21], v[6:7]
	v_mul_f64 v[20:21], v[66:67], s[50:51]
	v_add_f64 v[10:11], v[12:13], v[10:11]
	v_fma_f64 v[22:23], v[56:57], s[14:15], v[20:21]
	v_fma_f64 v[12:13], v[56:57], s[14:15], -v[20:21]
	v_mul_f64 v[20:21], v[74:75], s[24:25]
	v_add_f64 v[4:5], v[22:23], v[4:5]
	v_mul_f64 v[22:23], v[60:61], s[50:51]
	v_add_f64 v[8:9], v[12:13], v[8:9]
	v_fma_f64 v[84:85], v[54:55], s[14:15], -v[22:23]
	v_fma_f64 v[12:13], v[54:55], s[14:15], v[22:23]
	v_mul_f64 v[22:23], v[78:79], s[44:45]
	v_add_f64 v[6:7], v[84:85], v[6:7]
	v_mul_f64 v[84:85], v[58:59], s[26:27]
	v_add_f64 v[10:11], v[12:13], v[10:11]
	v_fma_f64 v[86:87], v[48:49], s[18:19], v[84:85]
	v_fma_f64 v[12:13], v[48:49], s[18:19], -v[84:85]
	v_fma_f64 v[84:85], v[76:77], s[8:9], -v[22:23]
	v_add_f64 v[4:5], v[86:87], v[4:5]
	v_mul_f64 v[86:87], v[52:53], s[26:27]
	v_add_f64 v[8:9], v[12:13], v[8:9]
	v_fma_f64 v[96:97], v[46:47], s[18:19], -v[86:87]
	v_fma_f64 v[12:13], v[46:47], s[18:19], v[86:87]
	v_add_f64 v[6:7], v[96:97], v[6:7]
	v_mul_f64 v[96:97], v[50:51], s[44:45]
	v_add_f64 v[10:11], v[12:13], v[10:11]
	v_fma_f64 v[98:99], v[40:41], s[8:9], v[96:97]
	v_fma_f64 v[12:13], v[40:41], s[8:9], -v[96:97]
	v_add_f64 v[4:5], v[98:99], v[4:5]
	v_mul_f64 v[98:99], v[44:45], s[44:45]
	v_add_f64 v[8:9], v[12:13], v[8:9]
	v_fma_f64 v[100:101], v[38:39], s[8:9], -v[98:99]
	v_fma_f64 v[12:13], v[38:39], s[8:9], v[98:99]
	v_add_f64 v[6:7], v[100:101], v[6:7]
	v_mul_f64 v[100:101], v[42:43], s[28:29]
	v_add_f64 v[10:11], v[12:13], v[10:11]
	v_fma_f64 v[102:103], v[34:35], s[20:21], v[100:101]
	v_fma_f64 v[12:13], v[34:35], s[20:21], -v[100:101]
	v_add_f64 v[4:5], v[102:103], v[4:5]
	v_mul_f64 v[102:103], v[36:37], s[28:29]
	v_add_f64 v[8:9], v[12:13], v[8:9]
	v_fma_f64 v[12:13], v[32:33], s[20:21], v[102:103]
	v_fma_f64 v[104:105], v[32:33], s[20:21], -v[102:103]
	v_add_f64 v[12:13], v[12:13], v[10:11]
	v_fma_f64 v[10:11], v[26:27], s[4:5], -v[106:107]
	v_add_f64 v[104:105], v[104:105], v[6:7]
	v_fma_f64 v[6:7], v[26:27], s[4:5], v[106:107]
	v_add_f64 v[10:11], v[10:11], v[8:9]
	v_add_f64 v[8:9], v[14:15], v[12:13]
	v_fma_f64 v[12:13], v[88:89], s[16:17], v[16:17]
	v_fma_f64 v[14:15], v[82:83], s[8:9], v[18:19]
	v_fma_f64 v[16:17], v[88:89], s[16:17], -v[16:17]
	v_fma_f64 v[18:19], v[82:83], s[8:9], -v[18:19]
	v_add_f64 v[6:7], v[6:7], v[4:5]
	v_fma_f64 v[4:5], v[24:25], s[4:5], -v[108:109]
	v_add_f64 v[12:13], v[70:71], v[12:13]
	v_add_f64 v[16:17], v[70:71], v[16:17]
	;; [unrolled: 1-line block ×4, first 2 shown]
	v_fma_f64 v[14:15], v[72:73], s[16:17], -v[20:21]
	v_add_f64 v[16:17], v[18:19], v[16:17]
	v_fma_f64 v[18:19], v[72:73], s[16:17], v[20:21]
	v_fma_f64 v[20:21], v[76:77], s[8:9], v[22:23]
	;; [unrolled: 1-line block ×3, first 2 shown]
	v_add_f64 v[14:15], v[68:69], v[14:15]
	v_add_f64 v[18:19], v[68:69], v[18:19]
	;; [unrolled: 1-line block ×3, first 2 shown]
	v_mul_f64 v[84:85], v[92:93], s[30:31]
	v_add_f64 v[18:19], v[20:21], v[18:19]
	v_fma_f64 v[86:87], v[64:65], s[4:5], v[84:85]
	v_fma_f64 v[20:21], v[64:65], s[4:5], -v[84:85]
	v_mul_f64 v[84:85], v[90:91], s[26:27]
	v_add_f64 v[12:13], v[86:87], v[12:13]
	v_mul_f64 v[86:87], v[80:81], s[30:31]
	v_add_f64 v[16:17], v[20:21], v[16:17]
	v_fma_f64 v[96:97], v[62:63], s[4:5], -v[86:87]
	v_fma_f64 v[20:21], v[62:63], s[4:5], v[86:87]
	v_mul_f64 v[86:87], v[94:95], s[46:47]
	v_add_f64 v[14:15], v[96:97], v[14:15]
	v_mul_f64 v[96:97], v[66:67], s[54:55]
	v_add_f64 v[18:19], v[20:21], v[18:19]
	v_fma_f64 v[98:99], v[56:57], s[18:19], v[96:97]
	v_fma_f64 v[20:21], v[56:57], s[18:19], -v[96:97]
	v_mul_f64 v[96:97], v[74:75], s[26:27]
	v_add_f64 v[12:13], v[98:99], v[12:13]
	v_mul_f64 v[98:99], v[60:61], s[54:55]
	v_add_f64 v[16:17], v[20:21], v[16:17]
	v_fma_f64 v[100:101], v[54:55], s[18:19], -v[98:99]
	v_fma_f64 v[20:21], v[54:55], s[18:19], v[98:99]
	v_mul_f64 v[98:99], v[78:79], s[46:47]
	v_add_f64 v[14:15], v[100:101], v[14:15]
	v_mul_f64 v[100:101], v[58:59], s[40:41]
	v_add_f64 v[18:19], v[20:21], v[18:19]
	v_fma_f64 v[102:103], v[48:49], s[38:39], v[100:101]
	v_fma_f64 v[20:21], v[48:49], s[38:39], -v[100:101]
	v_fma_f64 v[100:101], v[76:77], s[20:21], -v[98:99]
	v_add_f64 v[12:13], v[102:103], v[12:13]
	v_mul_f64 v[102:103], v[52:53], s[40:41]
	v_add_f64 v[16:17], v[20:21], v[16:17]
	v_fma_f64 v[104:105], v[46:47], s[38:39], -v[102:103]
	v_fma_f64 v[20:21], v[46:47], s[38:39], v[102:103]
	v_add_f64 v[14:15], v[104:105], v[14:15]
	v_mul_f64 v[104:105], v[50:51], s[22:23]
	v_add_f64 v[18:19], v[20:21], v[18:19]
	v_fma_f64 v[106:107], v[40:41], s[6:7], v[104:105]
	v_fma_f64 v[20:21], v[40:41], s[6:7], -v[104:105]
	v_add_f64 v[12:13], v[106:107], v[12:13]
	v_mul_f64 v[106:107], v[44:45], s[22:23]
	v_add_f64 v[16:17], v[20:21], v[16:17]
	v_fma_f64 v[108:109], v[38:39], s[6:7], -v[106:107]
	v_fma_f64 v[20:21], v[38:39], s[6:7], v[106:107]
	v_add_f64 v[14:15], v[108:109], v[14:15]
	v_mul_f64 v[108:109], v[42:43], s[50:51]
	v_add_f64 v[18:19], v[20:21], v[18:19]
	v_fma_f64 v[110:111], v[34:35], s[14:15], v[108:109]
	v_fma_f64 v[20:21], v[34:35], s[14:15], -v[108:109]
	v_add_f64 v[12:13], v[110:111], v[12:13]
	v_mul_f64 v[110:111], v[36:37], s[50:51]
	v_add_f64 v[16:17], v[20:21], v[16:17]
	v_fma_f64 v[20:21], v[32:33], s[14:15], v[110:111]
	v_fma_f64 v[112:113], v[32:33], s[14:15], -v[110:111]
	v_add_f64 v[20:21], v[20:21], v[18:19]
	v_fma_f64 v[18:19], v[26:27], s[20:21], -v[114:115]
	v_add_f64 v[112:113], v[112:113], v[14:15]
	v_fma_f64 v[14:15], v[26:27], s[20:21], v[114:115]
	v_add_f64 v[18:19], v[18:19], v[16:17]
	v_add_f64 v[16:17], v[22:23], v[20:21]
	v_fma_f64 v[20:21], v[88:89], s[18:19], v[84:85]
	v_fma_f64 v[22:23], v[82:83], s[20:21], v[86:87]
	v_fma_f64 v[84:85], v[88:89], s[18:19], -v[84:85]
	v_fma_f64 v[86:87], v[82:83], s[20:21], -v[86:87]
	v_add_f64 v[14:15], v[14:15], v[12:13]
	v_fma_f64 v[12:13], v[24:25], s[20:21], -v[116:117]
	v_add_f64 v[20:21], v[70:71], v[20:21]
	v_add_f64 v[84:85], v[70:71], v[84:85]
	;; [unrolled: 1-line block ×4, first 2 shown]
	v_fma_f64 v[22:23], v[72:73], s[18:19], -v[96:97]
	v_add_f64 v[84:85], v[86:87], v[84:85]
	v_fma_f64 v[86:87], v[72:73], s[18:19], v[96:97]
	v_fma_f64 v[96:97], v[76:77], s[20:21], v[98:99]
	;; [unrolled: 1-line block ×3, first 2 shown]
	v_add_f64 v[22:23], v[68:69], v[22:23]
	v_add_f64 v[86:87], v[68:69], v[86:87]
	;; [unrolled: 1-line block ×3, first 2 shown]
	v_mul_f64 v[100:101], v[92:93], s[40:41]
	v_add_f64 v[86:87], v[96:97], v[86:87]
	v_fma_f64 v[102:103], v[64:65], s[38:39], v[100:101]
	v_fma_f64 v[96:97], v[64:65], s[38:39], -v[100:101]
	v_mul_f64 v[100:101], v[90:91], s[28:29]
	v_add_f64 v[20:21], v[102:103], v[20:21]
	v_mul_f64 v[102:103], v[80:81], s[40:41]
	v_add_f64 v[84:85], v[96:97], v[84:85]
	v_fma_f64 v[104:105], v[62:63], s[38:39], -v[102:103]
	v_fma_f64 v[96:97], v[62:63], s[38:39], v[102:103]
	v_mul_f64 v[102:103], v[94:95], s[48:49]
	v_add_f64 v[22:23], v[104:105], v[22:23]
	v_mul_f64 v[104:105], v[66:67], s[24:25]
	v_add_f64 v[86:87], v[96:97], v[86:87]
	v_fma_f64 v[106:107], v[56:57], s[16:17], v[104:105]
	v_fma_f64 v[96:97], v[56:57], s[16:17], -v[104:105]
	v_mul_f64 v[104:105], v[74:75], s[28:29]
	v_add_f64 v[20:21], v[106:107], v[20:21]
	v_mul_f64 v[106:107], v[60:61], s[24:25]
	v_add_f64 v[84:85], v[96:97], v[84:85]
	v_fma_f64 v[108:109], v[54:55], s[16:17], -v[106:107]
	v_fma_f64 v[96:97], v[54:55], s[16:17], v[106:107]
	v_mul_f64 v[106:107], v[78:79], s[48:49]
	v_add_f64 v[22:23], v[108:109], v[22:23]
	v_mul_f64 v[108:109], v[58:59], s[56:57]
	v_add_f64 v[86:87], v[96:97], v[86:87]
	v_fma_f64 v[110:111], v[48:49], s[4:5], v[108:109]
	v_fma_f64 v[96:97], v[48:49], s[4:5], -v[108:109]
	v_fma_f64 v[108:109], v[76:77], s[16:17], -v[106:107]
	v_add_f64 v[20:21], v[110:111], v[20:21]
	v_mul_f64 v[110:111], v[52:53], s[56:57]
	v_add_f64 v[84:85], v[96:97], v[84:85]
	v_fma_f64 v[112:113], v[46:47], s[4:5], -v[110:111]
	v_fma_f64 v[96:97], v[46:47], s[4:5], v[110:111]
	v_add_f64 v[22:23], v[112:113], v[22:23]
	v_mul_f64 v[112:113], v[50:51], s[36:37]
	v_add_f64 v[86:87], v[96:97], v[86:87]
	v_fma_f64 v[114:115], v[40:41], s[14:15], v[112:113]
	v_fma_f64 v[96:97], v[40:41], s[14:15], -v[112:113]
	v_add_f64 v[20:21], v[114:115], v[20:21]
	v_mul_f64 v[114:115], v[44:45], s[36:37]
	v_add_f64 v[84:85], v[96:97], v[84:85]
	v_fma_f64 v[116:117], v[38:39], s[14:15], -v[114:115]
	v_fma_f64 v[96:97], v[38:39], s[14:15], v[114:115]
	v_add_f64 v[22:23], v[116:117], v[22:23]
	v_mul_f64 v[116:117], v[42:43], s[22:23]
	v_add_f64 v[86:87], v[96:97], v[86:87]
	v_fma_f64 v[118:119], v[34:35], s[6:7], v[116:117]
	v_fma_f64 v[96:97], v[34:35], s[6:7], -v[116:117]
	v_add_f64 v[20:21], v[118:119], v[20:21]
	v_mul_f64 v[118:119], v[36:37], s[22:23]
	v_add_f64 v[84:85], v[96:97], v[84:85]
	v_fma_f64 v[96:97], v[32:33], s[6:7], v[118:119]
	v_fma_f64 v[120:121], v[32:33], s[6:7], -v[118:119]
	v_add_f64 v[96:97], v[96:97], v[86:87]
	v_fma_f64 v[86:87], v[26:27], s[8:9], -v[122:123]
	v_add_f64 v[120:121], v[120:121], v[22:23]
	v_fma_f64 v[22:23], v[26:27], s[8:9], v[122:123]
	v_add_f64 v[86:87], v[86:87], v[84:85]
	v_add_f64 v[84:85], v[98:99], v[96:97]
	v_fma_f64 v[96:97], v[88:89], s[20:21], v[100:101]
	v_fma_f64 v[98:99], v[82:83], s[16:17], v[102:103]
	v_fma_f64 v[100:101], v[88:89], s[20:21], -v[100:101]
	v_fma_f64 v[102:103], v[82:83], s[16:17], -v[102:103]
	v_add_f64 v[22:23], v[22:23], v[20:21]
	v_fma_f64 v[20:21], v[24:25], s[8:9], -v[124:125]
	v_add_f64 v[96:97], v[70:71], v[96:97]
	v_add_f64 v[100:101], v[70:71], v[100:101]
	;; [unrolled: 1-line block ×4, first 2 shown]
	v_fma_f64 v[98:99], v[72:73], s[20:21], -v[104:105]
	v_add_f64 v[100:101], v[102:103], v[100:101]
	v_add_f64 v[98:99], v[68:69], v[98:99]
	;; [unrolled: 1-line block ×3, first 2 shown]
	v_mul_f64 v[108:109], v[92:93], s[50:51]
	v_fma_f64 v[110:111], v[64:65], s[14:15], v[108:109]
	v_fma_f64 v[102:103], v[64:65], s[14:15], -v[108:109]
	v_mul_f64 v[108:109], v[90:91], s[30:31]
	v_add_f64 v[96:97], v[110:111], v[96:97]
	v_mul_f64 v[110:111], v[66:67], s[34:35]
	v_add_f64 v[100:101], v[102:103], v[100:101]
	v_fma_f64 v[112:113], v[56:57], s[8:9], v[110:111]
	v_fma_f64 v[102:103], v[56:57], s[8:9], -v[110:111]
	v_mul_f64 v[110:111], v[94:95], s[22:23]
	v_add_f64 v[96:97], v[112:113], v[96:97]
	v_mul_f64 v[112:113], v[58:59], s[22:23]
	v_add_f64 v[100:101], v[102:103], v[100:101]
	;; [unrolled: 6-line block ×5, first 2 shown]
	v_fma_f64 v[102:103], v[72:73], s[20:21], v[104:105]
	v_fma_f64 v[104:105], v[76:77], s[16:17], v[106:107]
	;; [unrolled: 1-line block ×3, first 2 shown]
	v_fma_f64 v[120:121], v[62:63], s[14:15], -v[118:119]
	v_add_f64 v[102:103], v[68:69], v[102:103]
	v_add_f64 v[98:99], v[120:121], v[98:99]
	v_mul_f64 v[120:121], v[60:61], s[34:35]
	v_add_f64 v[102:103], v[104:105], v[102:103]
	v_fma_f64 v[104:105], v[62:63], s[14:15], v[118:119]
	v_mul_f64 v[118:119], v[50:51], s[24:25]
	v_fma_f64 v[122:123], v[54:55], s[8:9], -v[120:121]
	v_add_f64 v[102:103], v[104:105], v[102:103]
	v_fma_f64 v[104:105], v[54:55], s[8:9], v[120:121]
	v_mul_f64 v[120:121], v[42:43], s[54:55]
	v_add_f64 v[98:99], v[122:123], v[98:99]
	v_mul_f64 v[122:123], v[52:53], s[22:23]
	v_add_f64 v[102:103], v[104:105], v[102:103]
	v_fma_f64 v[124:125], v[46:47], s[6:7], -v[122:123]
	v_fma_f64 v[104:105], v[46:47], s[6:7], v[122:123]
	v_mul_f64 v[122:123], v[74:75], s[30:31]
	v_add_f64 v[98:99], v[124:125], v[98:99]
	v_mul_f64 v[124:125], v[44:45], s[56:57]
	v_add_f64 v[102:103], v[104:105], v[102:103]
	v_fma_f64 v[126:127], v[38:39], s[4:5], -v[124:125]
	v_fma_f64 v[104:105], v[38:39], s[4:5], v[124:125]
	v_mul_f64 v[124:125], v[78:79], s[22:23]
	v_add_f64 v[98:99], v[126:127], v[98:99]
	v_mul_f64 v[126:127], v[36:37], s[40:41]
	v_add_f64 v[102:103], v[104:105], v[102:103]
	v_fma_f64 v[104:105], v[32:33], s[38:39], v[126:127]
	v_fma_f64 v[128:129], v[32:33], s[38:39], -v[126:127]
	v_fma_f64 v[126:127], v[76:77], s[6:7], -v[124:125]
	v_add_f64 v[104:105], v[104:105], v[102:103]
	v_fma_f64 v[102:103], v[26:27], s[18:19], -v[130:131]
	v_add_f64 v[128:129], v[128:129], v[98:99]
	v_fma_f64 v[98:99], v[26:27], s[18:19], v[130:131]
	v_add_f64 v[102:103], v[102:103], v[100:101]
	v_add_f64 v[100:101], v[106:107], v[104:105]
	v_fma_f64 v[104:105], v[88:89], s[4:5], v[108:109]
	v_fma_f64 v[106:107], v[82:83], s[6:7], v[110:111]
	v_fma_f64 v[108:109], v[88:89], s[4:5], -v[108:109]
	v_fma_f64 v[110:111], v[82:83], s[6:7], -v[110:111]
	v_add_f64 v[98:99], v[98:99], v[96:97]
	v_fma_f64 v[96:97], v[24:25], s[18:19], -v[132:133]
	v_add_f64 v[104:105], v[70:71], v[104:105]
	v_add_f64 v[108:109], v[70:71], v[108:109]
	;; [unrolled: 1-line block ×4, first 2 shown]
	v_fma_f64 v[106:107], v[64:65], s[20:21], v[112:113]
	v_add_f64 v[108:109], v[110:111], v[108:109]
	v_fma_f64 v[110:111], v[64:65], s[20:21], -v[112:113]
	v_fma_f64 v[112:113], v[76:77], s[6:7], v[124:125]
	v_mul_f64 v[124:125], v[58:59], s[50:51]
	v_add_f64 v[104:105], v[106:107], v[104:105]
	v_fma_f64 v[106:107], v[56:57], s[38:39], v[114:115]
	v_add_f64 v[108:109], v[110:111], v[108:109]
	v_fma_f64 v[110:111], v[56:57], s[38:39], -v[114:115]
	v_fma_f64 v[114:115], v[24:25], s[14:15], v[149:150]
	v_add_f64 v[104:105], v[106:107], v[104:105]
	v_fma_f64 v[106:107], v[48:49], s[8:9], v[116:117]
	v_add_f64 v[108:109], v[110:111], v[108:109]
	v_fma_f64 v[110:111], v[48:49], s[8:9], -v[116:117]
	v_mul_f64 v[116:117], v[90:91], s[34:35]
	v_add_f64 v[104:105], v[106:107], v[104:105]
	v_fma_f64 v[106:107], v[40:41], s[16:17], v[118:119]
	v_add_f64 v[108:109], v[110:111], v[108:109]
	v_fma_f64 v[110:111], v[40:41], s[16:17], -v[118:119]
	v_mul_f64 v[118:119], v[94:95], s[26:27]
	;; [unrolled: 5-line block ×3, first 2 shown]
	v_add_f64 v[104:105], v[106:107], v[104:105]
	v_fma_f64 v[106:107], v[72:73], s[4:5], -v[122:123]
	v_add_f64 v[108:109], v[110:111], v[108:109]
	v_fma_f64 v[110:111], v[72:73], s[4:5], v[122:123]
	v_mul_f64 v[122:123], v[66:67], s[46:47]
	v_add_f64 v[106:107], v[68:69], v[106:107]
	v_add_f64 v[110:111], v[68:69], v[110:111]
	;; [unrolled: 1-line block ×3, first 2 shown]
	v_mul_f64 v[126:127], v[80:81], s[46:47]
	v_add_f64 v[110:111], v[112:113], v[110:111]
	v_fma_f64 v[128:129], v[62:63], s[20:21], -v[126:127]
	v_fma_f64 v[112:113], v[62:63], s[20:21], v[126:127]
	v_mul_f64 v[126:127], v[50:51], s[40:41]
	v_add_f64 v[106:107], v[128:129], v[106:107]
	v_mul_f64 v[128:129], v[60:61], s[42:43]
	v_add_f64 v[110:111], v[112:113], v[110:111]
	v_fma_f64 v[130:131], v[54:55], s[38:39], -v[128:129]
	v_fma_f64 v[112:113], v[54:55], s[38:39], v[128:129]
	v_mul_f64 v[128:129], v[42:43], s[30:31]
	v_add_f64 v[106:107], v[130:131], v[106:107]
	;; [unrolled: 6-line block ×4, first 2 shown]
	v_mul_f64 v[134:135], v[36:37], s[54:55]
	v_add_f64 v[110:111], v[112:113], v[110:111]
	v_fma_f64 v[112:113], v[32:33], s[18:19], v[134:135]
	v_fma_f64 v[145:146], v[32:33], s[18:19], -v[134:135]
	v_fma_f64 v[134:135], v[76:77], s[18:19], -v[132:133]
	v_add_f64 v[112:113], v[112:113], v[110:111]
	v_fma_f64 v[110:111], v[26:27], s[14:15], -v[147:148]
	v_add_f64 v[145:146], v[145:146], v[106:107]
	v_fma_f64 v[106:107], v[26:27], s[14:15], v[147:148]
	v_add_f64 v[110:111], v[110:111], v[108:109]
	v_add_f64 v[108:109], v[114:115], v[112:113]
	v_fma_f64 v[112:113], v[88:89], s[8:9], v[116:117]
	v_fma_f64 v[114:115], v[82:83], s[18:19], v[118:119]
	v_fma_f64 v[116:117], v[88:89], s[8:9], -v[116:117]
	v_fma_f64 v[118:119], v[82:83], s[18:19], -v[118:119]
	v_add_f64 v[106:107], v[106:107], v[104:105]
	v_fma_f64 v[104:105], v[24:25], s[14:15], -v[149:150]
	v_add_f64 v[112:113], v[70:71], v[112:113]
	v_add_f64 v[116:117], v[70:71], v[116:117]
	;; [unrolled: 1-line block ×4, first 2 shown]
	v_fma_f64 v[114:115], v[64:65], s[6:7], v[120:121]
	v_add_f64 v[116:117], v[118:119], v[116:117]
	v_fma_f64 v[118:119], v[64:65], s[6:7], -v[120:121]
	v_fma_f64 v[120:121], v[76:77], s[18:19], v[132:133]
	v_mul_f64 v[132:133], v[58:59], s[48:49]
	v_mul_f64 v[58:59], v[58:59], s[28:29]
	v_add_f64 v[112:113], v[114:115], v[112:113]
	v_fma_f64 v[114:115], v[56:57], s[20:21], v[122:123]
	v_add_f64 v[116:117], v[118:119], v[116:117]
	v_fma_f64 v[118:119], v[56:57], s[20:21], -v[122:123]
	v_fma_f64 v[122:123], v[24:25], s[16:17], v[157:158]
	v_add_f64 v[112:113], v[114:115], v[112:113]
	v_fma_f64 v[114:115], v[48:49], s[14:15], v[124:125]
	v_add_f64 v[116:117], v[118:119], v[116:117]
	v_fma_f64 v[118:119], v[48:49], s[14:15], -v[124:125]
	v_mul_f64 v[124:125], v[90:91], s[36:37]
	v_mul_f64 v[90:91], v[90:91], s[40:41]
	v_add_f64 v[112:113], v[114:115], v[112:113]
	v_fma_f64 v[114:115], v[40:41], s[38:39], v[126:127]
	v_add_f64 v[116:117], v[118:119], v[116:117]
	v_fma_f64 v[118:119], v[40:41], s[38:39], -v[126:127]
	v_mul_f64 v[126:127], v[94:95], s[30:31]
	v_add_f64 v[112:113], v[114:115], v[112:113]
	v_fma_f64 v[114:115], v[34:35], s[4:5], v[128:129]
	v_add_f64 v[116:117], v[118:119], v[116:117]
	v_fma_f64 v[118:119], v[34:35], s[4:5], -v[128:129]
	v_mul_f64 v[128:129], v[92:93], s[26:27]
	v_add_f64 v[112:113], v[114:115], v[112:113]
	v_fma_f64 v[114:115], v[72:73], s[8:9], -v[130:131]
	v_add_f64 v[116:117], v[118:119], v[116:117]
	v_fma_f64 v[118:119], v[72:73], s[8:9], v[130:131]
	v_mul_f64 v[130:131], v[66:67], s[22:23]
	v_mul_f64 v[66:67], v[66:67], s[30:31]
	v_add_f64 v[114:115], v[68:69], v[114:115]
	v_add_f64 v[118:119], v[68:69], v[118:119]
	;; [unrolled: 1-line block ×3, first 2 shown]
	v_mul_f64 v[134:135], v[80:81], s[52:53]
	v_add_f64 v[118:119], v[120:121], v[118:119]
	v_fma_f64 v[145:146], v[62:63], s[6:7], -v[134:135]
	v_fma_f64 v[120:121], v[62:63], s[6:7], v[134:135]
	v_mul_f64 v[134:135], v[50:51], s[46:47]
	v_mul_f64 v[50:51], v[50:51], s[26:27]
	v_add_f64 v[114:115], v[145:146], v[114:115]
	v_mul_f64 v[145:146], v[60:61], s[46:47]
	v_add_f64 v[118:119], v[120:121], v[118:119]
	v_fma_f64 v[147:148], v[54:55], s[20:21], -v[145:146]
	v_fma_f64 v[120:121], v[54:55], s[20:21], v[145:146]
	v_mul_f64 v[145:146], v[42:43], s[44:45]
	v_mul_f64 v[42:43], v[42:43], s[24:25]
	v_add_f64 v[114:115], v[147:148], v[114:115]
	;; [unrolled: 7-line block ×4, first 2 shown]
	v_mul_f64 v[151:152], v[36:37], s[30:31]
	v_add_f64 v[118:119], v[120:121], v[118:119]
	v_fma_f64 v[120:121], v[32:33], s[4:5], v[151:152]
	v_fma_f64 v[153:154], v[32:33], s[4:5], -v[151:152]
	v_fma_f64 v[151:152], v[76:77], s[4:5], -v[149:150]
	v_add_f64 v[120:121], v[120:121], v[118:119]
	v_fma_f64 v[118:119], v[26:27], s[16:17], -v[155:156]
	v_add_f64 v[153:154], v[153:154], v[114:115]
	v_fma_f64 v[114:115], v[26:27], s[16:17], v[155:156]
	v_add_f64 v[118:119], v[118:119], v[116:117]
	v_add_f64 v[116:117], v[122:123], v[120:121]
	v_fma_f64 v[120:121], v[88:89], s[14:15], v[124:125]
	v_fma_f64 v[122:123], v[82:83], s[4:5], v[126:127]
	v_fma_f64 v[124:125], v[88:89], s[14:15], -v[124:125]
	v_fma_f64 v[126:127], v[82:83], s[4:5], -v[126:127]
	v_add_f64 v[114:115], v[114:115], v[112:113]
	v_fma_f64 v[112:113], v[24:25], s[16:17], -v[157:158]
	v_add_f64 v[120:121], v[70:71], v[120:121]
	v_add_f64 v[124:125], v[70:71], v[124:125]
	;; [unrolled: 1-line block ×4, first 2 shown]
	v_fma_f64 v[122:123], v[64:65], s[18:19], v[128:129]
	v_add_f64 v[124:125], v[126:127], v[124:125]
	v_fma_f64 v[126:127], v[64:65], s[18:19], -v[128:129]
	v_fma_f64 v[128:129], v[76:77], s[4:5], v[149:150]
	v_add_f64 v[120:121], v[122:123], v[120:121]
	v_fma_f64 v[122:123], v[56:57], s[6:7], v[130:131]
	v_add_f64 v[124:125], v[126:127], v[124:125]
	v_fma_f64 v[126:127], v[56:57], s[6:7], -v[130:131]
	v_fma_f64 v[130:131], v[24:25], s[38:39], v[165:166]
	v_add_f64 v[120:121], v[122:123], v[120:121]
	v_fma_f64 v[122:123], v[48:49], s[16:17], v[132:133]
	v_add_f64 v[124:125], v[126:127], v[124:125]
	v_fma_f64 v[126:127], v[48:49], s[16:17], -v[132:133]
	v_add_f64 v[120:121], v[122:123], v[120:121]
	v_fma_f64 v[122:123], v[40:41], s[20:21], v[134:135]
	v_add_f64 v[124:125], v[126:127], v[124:125]
	v_fma_f64 v[126:127], v[40:41], s[20:21], -v[134:135]
	;; [unrolled: 4-line block ×3, first 2 shown]
	v_add_f64 v[120:121], v[122:123], v[120:121]
	v_fma_f64 v[122:123], v[72:73], s[14:15], -v[147:148]
	v_add_f64 v[124:125], v[126:127], v[124:125]
	v_fma_f64 v[126:127], v[72:73], s[14:15], v[147:148]
	v_add_f64 v[122:123], v[68:69], v[122:123]
	v_add_f64 v[126:127], v[68:69], v[126:127]
	;; [unrolled: 1-line block ×3, first 2 shown]
	v_mul_f64 v[151:152], v[80:81], s[26:27]
	v_add_f64 v[126:127], v[128:129], v[126:127]
	v_mul_f64 v[80:81], v[80:81], s[34:35]
	v_fma_f64 v[153:154], v[62:63], s[18:19], -v[151:152]
	v_fma_f64 v[128:129], v[62:63], s[18:19], v[151:152]
	v_add_f64 v[122:123], v[153:154], v[122:123]
	v_mul_f64 v[153:154], v[60:61], s[22:23]
	v_add_f64 v[126:127], v[128:129], v[126:127]
	v_mul_f64 v[60:61], v[60:61], s[30:31]
	v_fma_f64 v[155:156], v[54:55], s[6:7], -v[153:154]
	v_fma_f64 v[128:129], v[54:55], s[6:7], v[153:154]
	v_add_f64 v[122:123], v[155:156], v[122:123]
	;; [unrolled: 6-line block ×4, first 2 shown]
	v_mul_f64 v[159:160], v[36:37], s[44:45]
	v_add_f64 v[126:127], v[128:129], v[126:127]
	v_mul_f64 v[36:37], v[36:37], s[24:25]
	v_fma_f64 v[128:129], v[32:33], s[8:9], v[159:160]
	v_fma_f64 v[161:162], v[32:33], s[8:9], -v[159:160]
	v_add_f64 v[128:129], v[128:129], v[126:127]
	v_fma_f64 v[126:127], v[26:27], s[38:39], -v[163:164]
	v_add_f64 v[161:162], v[161:162], v[122:123]
	v_fma_f64 v[122:123], v[26:27], s[38:39], v[163:164]
	v_add_f64 v[126:127], v[126:127], v[124:125]
	v_add_f64 v[124:125], v[130:131], v[128:129]
	v_fma_f64 v[128:129], v[88:89], s[38:39], v[90:91]
	v_fma_f64 v[88:89], v[88:89], s[38:39], -v[90:91]
	v_fma_f64 v[90:91], v[72:73], s[38:39], -v[74:75]
	v_fma_f64 v[72:73], v[72:73], s[38:39], v[74:75]
	v_add_f64 v[122:123], v[122:123], v[120:121]
	v_fma_f64 v[120:121], v[24:25], s[38:39], -v[165:166]
	v_add_f64 v[74:75], v[70:71], v[128:129]
	v_add_f64 v[70:71], v[70:71], v[88:89]
	;; [unrolled: 1-line block ×4, first 2 shown]
	v_mul_f64 v[72:73], v[94:95], s[36:37]
	v_mul_f64 v[94:95], v[30:31], s[22:23]
	v_add_f64 v[120:121], v[120:121], v[161:162]
	v_fma_f64 v[88:89], v[82:83], s[14:15], -v[72:73]
	v_add_f64 v[70:71], v[88:89], v[70:71]
	v_mul_f64 v[88:89], v[92:93], s[34:35]
	v_fma_f64 v[92:93], v[64:65], s[8:9], -v[88:89]
	v_fma_f64 v[64:65], v[64:65], s[8:9], v[88:89]
	v_add_f64 v[70:71], v[92:93], v[70:71]
	v_fma_f64 v[92:93], v[56:57], s[4:5], -v[66:67]
	v_fma_f64 v[56:57], v[56:57], s[4:5], v[66:67]
	v_add_f64 v[70:71], v[92:93], v[70:71]
	;; [unrolled: 3-line block ×5, first 2 shown]
	v_fma_f64 v[92:93], v[76:77], s[14:15], v[78:79]
	v_add_f64 v[68:69], v[92:93], v[68:69]
	v_fma_f64 v[92:93], v[62:63], s[8:9], v[80:81]
	v_fma_f64 v[62:63], v[62:63], s[8:9], -v[80:81]
	v_add_f64 v[68:69], v[92:93], v[68:69]
	v_fma_f64 v[92:93], v[54:55], s[4:5], v[60:61]
	v_fma_f64 v[54:55], v[54:55], s[4:5], -v[60:61]
	;; [unrolled: 3-line block ×5, first 2 shown]
	v_add_f64 v[68:69], v[92:93], v[68:69]
	v_mul_f64 v[92:93], v[28:29], s[22:23]
	v_fma_f64 v[28:29], v[26:27], s[6:7], -v[92:93]
	v_fma_f64 v[26:27], v[26:27], s[6:7], v[92:93]
	v_add_f64 v[30:31], v[28:29], v[70:71]
	v_fma_f64 v[28:29], v[24:25], s[6:7], v[94:95]
	v_fma_f64 v[70:71], v[76:77], s[14:15], -v[78:79]
	v_fma_f64 v[24:25], v[24:25], s[6:7], -v[94:95]
	v_add_f64 v[28:29], v[28:29], v[68:69]
	v_fma_f64 v[68:69], v[82:83], s[14:15], v[72:73]
	v_add_f64 v[70:71], v[70:71], v[90:91]
	v_add_f64 v[68:69], v[68:69], v[74:75]
	;; [unrolled: 1-line block ×13, first 2 shown]
	v_add_nc_u32_e32 v32, 17, v138
	v_mul_u32_u24_e32 v32, 0x110, v32
	v_add3_u32 v32, 0, v32, v144
	v_add_f64 v[26:27], v[26:27], v[34:35]
	ds_write_b128 v32, v[0:3]
	ds_write_b128 v32, v[28:31] offset:16
	ds_write_b128 v32, v[124:127] offset:32
	;; [unrolled: 1-line block ×16, first 2 shown]
.LBB0_20:
	s_or_b32 exec_lo, exec_lo, s1
	v_add_nc_u16 v2, v138, 34
	v_lshlrev_b32_e32 v131, 1, v138
	v_mov_b32_e32 v132, 0
	v_add_nc_u16 v3, v138, 51
	v_add_nc_u16 v6, v138, 0x44
	v_and_b32_e32 v0, 0xff, v2
	s_waitcnt lgkmcnt(0)
	s_barrier
	v_and_b32_e32 v8, 0xff, v3
	buffer_gl0_inv
	v_mul_lo_u16 v5, 0xf1, v0
	v_lshlrev_b64 v[0:1], 4, v[131:132]
	v_and_b32_e32 v11, 0xff, v6
	v_mul_lo_u16 v8, 0xf1, v8
	v_add_nc_u16 v7, v138, 0x55
	v_lshrrev_b16 v5, 12, v5
	v_add_nc_u16 v9, v138, 0x66
	v_add_co_u32 v0, s0, s12, v0
	v_add_co_ci_u32_e64 v1, s0, s13, v1, s0
	v_mul_lo_u16 v5, v5, 17
	v_lshrrev_b16 v8, 12, v8
	v_add_nc_u16 v10, v138, 0x77
	s_clause 0x1
	global_load_dwordx4 v[32:35], v[0:1], off
	global_load_dwordx4 v[28:31], v[0:1], off offset:16
	v_mul_lo_u16 v0, 0xf1, v11
	v_sub_nc_u16 v133, v2, v5
	v_mul_lo_u16 v2, v8, 17
	v_mov_b32_e32 v4, 5
	v_and_b32_e32 v12, 0xff, v7
	v_and_b32_e32 v1, 0xff, v9
	v_lshrrev_b16 v0, 12, v0
	v_and_b32_e32 v8, 0xff, v10
	v_sub_nc_u16 v134, v3, v2
	v_lshlrev_b32_sdwa v5, v4, v133 dst_sel:DWORD dst_unused:UNUSED_PAD src0_sel:DWORD src1_sel:BYTE_0
	v_mul_lo_u16 v11, 0xf1, v12
	v_mul_lo_u16 v1, 0xf1, v1
	;; [unrolled: 1-line block ×4, first 2 shown]
	v_lshlrev_b32_sdwa v8, v4, v134 dst_sel:DWORD dst_unused:UNUSED_PAD src0_sel:DWORD src1_sel:BYTE_0
	s_clause 0x1
	global_load_dwordx4 v[48:51], v5, s[12:13]
	global_load_dwordx4 v[36:39], v5, s[12:13] offset:16
	v_lshrrev_b16 v3, 12, v11
	v_sub_nc_u16 v135, v6, v0
	v_lshrrev_b16 v0, 12, v1
	global_load_dwordx4 v[44:47], v8, s[12:13]
	v_lshrrev_b16 v2, 12, v2
	v_mul_lo_u16 v1, v3, 17
	v_lshlrev_b32_sdwa v3, v4, v135 dst_sel:DWORD dst_unused:UNUSED_PAD src0_sel:DWORD src1_sel:BYTE_0
	v_mul_lo_u16 v0, v0, 17
	s_clause 0x1
	global_load_dwordx4 v[40:43], v8, s[12:13] offset:16
	global_load_dwordx4 v[52:55], v3, s[12:13]
	v_sub_nc_u16 v145, v7, v1
	v_mul_lo_u16 v1, v2, 17
	v_sub_nc_u16 v146, v9, v0
	global_load_dwordx4 v[56:59], v3, s[12:13] offset:16
	v_mov_b32_e32 v172, 4
	v_lshlrev_b32_sdwa v0, v4, v145 dst_sel:DWORD dst_unused:UNUSED_PAD src0_sel:DWORD src1_sel:BYTE_0
	v_sub_nc_u16 v147, v10, v1
	v_lshlrev_b32_sdwa v1, v4, v146 dst_sel:DWORD dst_unused:UNUSED_PAD src0_sel:DWORD src1_sel:BYTE_0
	v_mul_u32_u24_e32 v168, 7, v138
	v_lshlrev_b32_sdwa v174, v172, v133 dst_sel:DWORD dst_unused:UNUSED_PAD src0_sel:DWORD src1_sel:BYTE_0
	s_clause 0x2
	global_load_dwordx4 v[64:67], v0, s[12:13]
	global_load_dwordx4 v[60:63], v0, s[12:13] offset:16
	global_load_dwordx4 v[72:75], v1, s[12:13]
	v_lshlrev_b32_sdwa v0, v4, v147 dst_sel:DWORD dst_unused:UNUSED_PAD src0_sel:DWORD src1_sel:BYTE_0
	s_clause 0x2
	global_load_dwordx4 v[68:71], v1, s[12:13] offset:16
	global_load_dwordx4 v[80:83], v0, s[12:13]
	global_load_dwordx4 v[76:79], v0, s[12:13] offset:16
	ds_read_b128 v[24:27], v143
	ds_read_b128 v[16:19], v139 offset:272
	ds_read_b128 v[128:131], v139 offset:2176
	;; [unrolled: 1-line block ×23, first 2 shown]
	v_lshlrev_b32_e32 v180, 4, v168
	v_lshlrev_b32_sdwa v175, v172, v134 dst_sel:DWORD dst_unused:UNUSED_PAD src0_sel:DWORD src1_sel:BYTE_0
	v_lshlrev_b32_sdwa v176, v172, v145 dst_sel:DWORD dst_unused:UNUSED_PAD src0_sel:DWORD src1_sel:BYTE_0
	;; [unrolled: 1-line block ×5, first 2 shown]
	v_add3_u32 v181, 0, v174, v144
	v_add3_u32 v182, 0, v175, v144
	;; [unrolled: 1-line block ×5, first 2 shown]
	s_mov_b32 s0, 0xe8584caa
	s_mov_b32 s1, 0xbfebb67a
	;; [unrolled: 1-line block ×4, first 2 shown]
	s_waitcnt vmcnt(0) lgkmcnt(0)
	s_barrier
	buffer_gl0_inv
	v_mul_f64 v[168:169], v[130:131], v[34:35]
	v_mul_f64 v[170:171], v[128:129], v[34:35]
	;; [unrolled: 1-line block ×12, first 2 shown]
	v_fma_f64 v[128:129], v[128:129], v[32:33], v[168:169]
	v_fma_f64 v[130:131], v[130:131], v[32:33], -v[170:171]
	v_mul_f64 v[168:169], v[106:107], v[46:47]
	v_fma_f64 v[124:125], v[124:125], v[32:33], v[133:134]
	v_fma_f64 v[32:33], v[126:127], v[32:33], -v[34:35]
	v_mul_f64 v[34:35], v[104:105], v[46:47]
	v_mul_f64 v[46:47], v[94:95], v[42:43]
	;; [unrolled: 1-line block ×4, first 2 shown]
	v_fma_f64 v[120:121], v[120:121], v[28:29], v[145:146]
	v_fma_f64 v[122:123], v[122:123], v[28:29], -v[172:173]
	v_mul_f64 v[54:55], v[96:97], v[54:55]
	v_mul_f64 v[133:134], v[102:103], v[58:59]
	v_fma_f64 v[116:117], v[116:117], v[28:29], v[174:175]
	v_fma_f64 v[118:119], v[118:119], v[28:29], -v[30:31]
	v_mul_f64 v[28:29], v[100:101], v[58:59]
	v_fma_f64 v[112:113], v[112:113], v[48:49], v[176:177]
	v_mul_f64 v[30:31], v[86:87], v[66:67]
	v_mul_f64 v[58:59], v[84:85], v[66:67]
	;; [unrolled: 1-line block ×3, first 2 shown]
	v_fma_f64 v[48:49], v[114:115], v[48:49], -v[50:51]
	v_mul_f64 v[50:51], v[88:89], v[62:63]
	v_mul_f64 v[62:63], v[154:155], v[74:75]
	;; [unrolled: 1-line block ×4, first 2 shown]
	v_fma_f64 v[108:109], v[108:109], v[36:37], v[178:179]
	v_fma_f64 v[36:37], v[110:111], v[36:37], -v[38:39]
	v_mul_f64 v[38:39], v[160:161], v[70:71]
	v_mul_f64 v[70:71], v[158:159], v[82:83]
	v_mul_f64 v[82:83], v[156:157], v[82:83]
	v_mul_f64 v[110:111], v[166:167], v[78:79]
	v_fma_f64 v[104:105], v[104:105], v[44:45], v[168:169]
	v_fma_f64 v[34:35], v[106:107], v[44:45], -v[34:35]
	v_mul_f64 v[44:45], v[164:165], v[78:79]
	v_fma_f64 v[46:47], v[92:93], v[40:41], v[46:47]
	v_fma_f64 v[40:41], v[94:95], v[40:41], -v[42:43]
	v_fma_f64 v[42:43], v[96:97], v[52:53], v[126:127]
	v_fma_f64 v[52:53], v[98:99], v[52:53], -v[54:55]
	;; [unrolled: 2-line block ×6, first 2 shown]
	v_fma_f64 v[64:65], v[160:161], v[68:69], v[114:115]
	v_add_f64 v[72:73], v[24:25], v[128:129]
	v_add_f64 v[74:75], v[128:129], v[120:121]
	v_fma_f64 v[38:39], v[162:163], v[68:69], -v[38:39]
	v_fma_f64 v[66:67], v[156:157], v[80:81], v[70:71]
	v_fma_f64 v[68:69], v[158:159], v[80:81], -v[82:83]
	v_fma_f64 v[70:71], v[164:165], v[76:77], v[110:111]
	v_add_f64 v[80:81], v[130:131], v[122:123]
	v_add_f64 v[78:79], v[26:27], v[130:131]
	v_fma_f64 v[44:45], v[166:167], v[76:77], -v[44:45]
	v_add_f64 v[86:87], v[124:125], v[116:117]
	v_add_f64 v[88:89], v[32:33], -v[118:119]
	v_add_f64 v[90:91], v[18:19], v[32:33]
	v_add_f64 v[32:33], v[32:33], v[118:119]
	;; [unrolled: 1-line block ×3, first 2 shown]
	v_add_f64 v[98:99], v[48:49], -v[36:37]
	v_add_f64 v[100:101], v[22:23], v[48:49]
	v_add_f64 v[48:49], v[48:49], v[36:37]
	;; [unrolled: 1-line block ×4, first 2 shown]
	v_add_f64 v[102:103], v[112:113], -v[108:109]
	v_add_f64 v[110:111], v[104:105], v[46:47]
	v_add_f64 v[112:113], v[34:35], -v[40:41]
	v_add_f64 v[114:115], v[10:11], v[34:35]
	v_add_f64 v[34:35], v[34:35], v[40:41]
	v_add_f64 v[76:77], v[130:131], -v[122:123]
	v_add_f64 v[82:83], v[128:129], -v[120:121]
	v_add_f64 v[126:127], v[42:43], v[54:55]
	v_add_f64 v[128:129], v[52:53], -v[56:57]
	v_add_f64 v[130:131], v[14:15], v[52:53]
	v_add_f64 v[52:53], v[52:53], v[56:57]
	v_add3_u32 v176, 0, v147, v144
	v_add_f64 v[144:145], v[28:29], v[58:59]
	v_add_f64 v[154:155], v[30:31], v[50:51]
	;; [unrolled: 1-line block ×4, first 2 shown]
	v_add_f64 v[162:163], v[62:63], -v[38:39]
	v_add_f64 v[164:165], v[6:7], v[62:63]
	v_add_f64 v[62:63], v[62:63], v[38:39]
	;; [unrolled: 1-line block ×3, first 2 shown]
	v_add_f64 v[170:171], v[68:69], -v[44:45]
	v_add_f64 v[172:173], v[150:151], v[68:69]
	v_add_f64 v[68:69], v[68:69], v[44:45]
	v_add_f64 v[92:93], v[124:125], -v[116:117]
	v_add_f64 v[124:125], v[12:13], v[42:43]
	v_add_f64 v[133:134], v[42:43], -v[54:55]
	v_add_f64 v[42:43], v[0:1], v[28:29]
	v_add_f64 v[156:157], v[28:29], -v[58:59]
	v_add_f64 v[158:159], v[4:5], v[60:61]
	v_add_f64 v[166:167], v[60:61], -v[64:65]
	v_add_f64 v[60:61], v[148:149], v[66:67]
	v_add_f64 v[174:175], v[66:67], -v[70:71]
	v_add_f64 v[28:29], v[72:73], v[120:121]
	v_fma_f64 v[66:67], v[74:75], -0.5, v[24:25]
	v_fma_f64 v[72:73], v[80:81], -0.5, v[26:27]
	v_add_f64 v[146:147], v[30:31], -v[50:51]
	v_add_f64 v[152:153], v[2:3], v[30:31]
	v_add_f64 v[30:31], v[78:79], v[122:123]
	v_fma_f64 v[74:75], v[86:87], -0.5, v[16:17]
	v_fma_f64 v[78:79], v[32:33], -0.5, v[18:19]
	;; [unrolled: 1-line block ×4, first 2 shown]
	v_add_f64 v[24:25], v[84:85], v[116:117]
	v_add_f64 v[26:27], v[90:91], v[118:119]
	v_add_f64 v[104:105], v[104:105], -v[46:47]
	v_fma_f64 v[84:85], v[110:111], -0.5, v[8:9]
	v_fma_f64 v[86:87], v[34:35], -0.5, v[10:11]
	v_add_f64 v[16:17], v[94:95], v[108:109]
	v_fma_f64 v[90:91], v[126:127], -0.5, v[12:13]
	v_fma_f64 v[94:95], v[52:53], -0.5, v[14:15]
	v_add_f64 v[18:19], v[100:101], v[36:37]
	;; [unrolled: 3-line block ×4, first 2 shown]
	v_fma_f64 v[110:111], v[168:169], -0.5, v[148:149]
	v_fma_f64 v[114:115], v[68:69], -0.5, v[150:151]
	v_fma_f64 v[32:33], v[76:77], s[0:1], v[66:67]
	v_fma_f64 v[34:35], v[82:83], s[4:5], v[72:73]
	v_add_f64 v[2:3], v[164:165], v[38:39]
	v_fma_f64 v[36:37], v[76:77], s[4:5], v[66:67]
	v_fma_f64 v[38:39], v[82:83], s[0:1], v[72:73]
	v_add_f64 v[12:13], v[42:43], v[58:59]
	v_fma_f64 v[40:41], v[88:89], s[0:1], v[74:75]
	v_fma_f64 v[42:43], v[92:93], s[4:5], v[78:79]
	v_add_f64 v[6:7], v[172:173], v[44:45]
	v_fma_f64 v[44:45], v[88:89], s[4:5], v[74:75]
	v_fma_f64 v[46:47], v[92:93], s[0:1], v[78:79]
	v_add_f64 v[8:9], v[124:125], v[54:55]
	v_add_f64 v[10:11], v[130:131], v[56:57]
	v_add_f64 v[14:15], v[152:153], v[50:51]
	;; [unrolled: 1-line block ×4, first 2 shown]
	ds_write_b128 v139, v[28:31]
	ds_write_b128 v139, v[24:27] offset:816
	v_fma_f64 v[24:25], v[98:99], s[0:1], v[80:81]
	v_fma_f64 v[26:27], v[102:103], s[4:5], v[48:49]
	;; [unrolled: 1-line block ×24, first 2 shown]
	ds_write_b128 v139, v[32:35] offset:272
	ds_write_b128 v139, v[36:39] offset:544
	ds_write_b128 v139, v[40:43] offset:1088
	ds_write_b128 v139, v[44:47] offset:1360
	ds_write_b128 v181, v[16:19] offset:1632
	ds_write_b128 v182, v[20:23] offset:2448
	ds_write_b128 v135, v[8:11] offset:3264
	ds_write_b128 v183, v[12:15] offset:4080
	ds_write_b128 v184, v[0:3] offset:4896
	ds_write_b128 v176, v[4:7] offset:5712
	ds_write_b128 v181, v[24:27] offset:1904
	ds_write_b128 v181, v[28:31] offset:2176
	ds_write_b128 v182, v[48:51] offset:2720
	ds_write_b128 v182, v[52:55] offset:2992
	ds_write_b128 v135, v[56:59] offset:3536
	ds_write_b128 v135, v[60:63] offset:3808
	ds_write_b128 v183, v[64:67] offset:4352
	ds_write_b128 v183, v[68:71] offset:4624
	ds_write_b128 v184, v[72:75] offset:5168
	ds_write_b128 v184, v[76:79] offset:5440
	ds_write_b128 v176, v[80:83] offset:5984
	ds_write_b128 v176, v[84:87] offset:6256
	s_waitcnt lgkmcnt(0)
	s_barrier
	buffer_gl0_inv
	s_clause 0x5
	global_load_dwordx4 v[12:15], v180, s[12:13] offset:544
	global_load_dwordx4 v[8:11], v180, s[12:13] offset:560
	;; [unrolled: 1-line block ×6, first 2 shown]
	v_add_co_u32 v54, s0, s12, v180
	v_add_co_ci_u32_e64 v55, null, s13, 0, s0
	global_load_dwordx4 v[28:31], v180, s[12:13] offset:640
	v_add_co_u32 v52, s0, 0x770, v54
	v_add_co_ci_u32_e64 v53, s0, 0, v55, s0
	s_clause 0x5
	global_load_dwordx4 v[40:43], v[52:53], off offset:544
	global_load_dwordx4 v[36:39], v[52:53], off offset:560
	;; [unrolled: 1-line block ×6, first 2 shown]
	v_add_co_u32 v80, s0, 0xee0, v54
	v_add_co_ci_u32_e64 v81, s0, 0, v55, s0
	s_clause 0x7
	global_load_dwordx4 v[52:55], v[52:53], off offset:640
	global_load_dwordx4 v[68:71], v[80:81], off offset:544
	;; [unrolled: 1-line block ×8, first 2 shown]
	ds_read_b128 v[84:87], v139 offset:816
	ds_read_b128 v[88:91], v139 offset:1632
	;; [unrolled: 1-line block ×9, first 2 shown]
	ds_read_b128 v[120:123], v143
	ds_read_b128 v[124:127], v139 offset:272
	ds_read_b128 v[128:131], v139 offset:3536
	;; [unrolled: 1-line block ×9, first 2 shown]
	s_mov_b32 s0, 0x667f3bcd
	s_mov_b32 s1, 0xbfe6a09e
	;; [unrolled: 1-line block ×4, first 2 shown]
	s_waitcnt vmcnt(20) lgkmcnt(18)
	v_mul_f64 v[133:134], v[86:87], v[14:15]
	v_mul_f64 v[14:15], v[84:85], v[14:15]
	s_waitcnt vmcnt(18) lgkmcnt(16)
	v_mul_f64 v[173:174], v[94:95], v[6:7]
	v_mul_f64 v[175:176], v[92:93], v[6:7]
	;; [unrolled: 3-line block ×4, first 2 shown]
	v_mul_f64 v[171:172], v[90:91], v[10:11]
	v_mul_f64 v[10:11], v[88:89], v[10:11]
	s_waitcnt vmcnt(15) lgkmcnt(12)
	v_mul_f64 v[181:182], v[110:111], v[34:35]
	v_mul_f64 v[34:35], v[108:109], v[34:35]
	s_waitcnt vmcnt(14)
	v_mul_f64 v[185:186], v[106:107], v[30:31]
	v_mul_f64 v[30:31], v[104:105], v[30:31]
	v_fma_f64 v[133:134], v[84:85], v[12:13], v[133:134]
	v_fma_f64 v[14:15], v[86:87], v[12:13], -v[14:15]
	v_fma_f64 v[92:93], v[92:93], v[4:5], v[173:174]
	v_fma_f64 v[4:5], v[94:95], v[4:5], -v[175:176]
	v_fma_f64 v[94:95], v[96:97], v[0:1], v[177:178]
	v_fma_f64 v[96:97], v[98:99], v[0:1], -v[2:3]
	s_waitcnt vmcnt(13) lgkmcnt(4)
	v_mul_f64 v[98:99], v[153:154], v[42:43]
	v_mul_f64 v[42:43], v[151:152], v[42:43]
	s_waitcnt vmcnt(12)
	v_mul_f64 v[173:174], v[118:119], v[38:39]
	v_fma_f64 v[100:101], v[100:101], v[16:17], v[179:180]
	v_fma_f64 v[16:17], v[102:103], v[16:17], -v[18:19]
	v_mul_f64 v[18:19], v[116:117], v[38:39]
	s_waitcnt vmcnt(11) lgkmcnt(2)
	v_mul_f64 v[38:39], v[161:162], v[26:27]
	v_mul_f64 v[26:27], v[159:160], v[26:27]
	s_waitcnt vmcnt(10)
	v_mul_f64 v[102:103], v[130:131], v[22:23]
	v_mul_f64 v[22:23], v[128:129], v[22:23]
	v_fma_f64 v[171:172], v[88:89], v[8:9], v[171:172]
	v_fma_f64 v[183:184], v[90:91], v[8:9], -v[10:11]
	ds_read_b128 v[6:9], v139 offset:4352
	ds_read_b128 v[10:13], v139 offset:4624
	;; [unrolled: 1-line block ×5, first 2 shown]
	v_fma_f64 v[108:109], v[108:109], v[32:33], v[181:182]
	v_fma_f64 v[32:33], v[110:111], v[32:33], -v[34:35]
	s_waitcnt vmcnt(8)
	v_mul_f64 v[110:111], v[149:150], v[46:47]
	v_fma_f64 v[104:105], v[104:105], v[28:29], v[185:186]
	v_fma_f64 v[28:29], v[106:107], v[28:29], -v[30:31]
	v_mul_f64 v[30:31], v[147:148], v[46:47]
	s_waitcnt vmcnt(6)
	v_mul_f64 v[106:107], v[157:158], v[70:71]
	s_waitcnt vmcnt(0) lgkmcnt(0)
	v_fma_f64 v[98:99], v[151:152], v[40:41], v[98:99]
	v_fma_f64 v[40:41], v[153:154], v[40:41], -v[42:43]
	v_mul_f64 v[42:43], v[155:156], v[70:71]
	v_mul_f64 v[70:71], v[145:146], v[66:67]
	;; [unrolled: 1-line block ×4, first 2 shown]
	v_fma_f64 v[116:117], v[116:117], v[36:37], v[173:174]
	v_fma_f64 v[18:19], v[118:119], v[36:37], -v[18:19]
	v_mul_f64 v[34:35], v[8:9], v[50:51]
	v_mul_f64 v[50:51], v[6:7], v[50:51]
	;; [unrolled: 1-line block ×8, first 2 shown]
	v_fma_f64 v[38:39], v[159:160], v[24:25], v[38:39]
	v_fma_f64 v[24:25], v[161:162], v[24:25], -v[26:27]
	v_mul_f64 v[26:27], v[10:11], v[74:75]
	v_mul_f64 v[74:75], v[86:87], v[78:79]
	;; [unrolled: 1-line block ×4, first 2 shown]
	v_fma_f64 v[102:103], v[128:129], v[20:21], v[102:103]
	v_fma_f64 v[20:21], v[130:131], v[20:21], -v[22:23]
	v_mul_f64 v[22:23], v[88:89], v[82:83]
	v_fma_f64 v[30:31], v[149:150], v[44:45], -v[30:31]
	v_fma_f64 v[42:43], v[157:158], v[68:69], -v[42:43]
	v_add_f64 v[32:33], v[183:184], -v[32:33]
	v_add_f64 v[16:17], v[14:15], -v[16:17]
	;; [unrolled: 1-line block ×3, first 2 shown]
	v_fma_f64 v[6:7], v[6:7], v[48:49], v[34:35]
	v_fma_f64 v[8:9], v[8:9], v[48:49], -v[50:51]
	v_fma_f64 v[34:35], v[147:148], v[44:45], v[110:111]
	v_fma_f64 v[0:1], v[0:1], v[52:53], v[46:47]
	v_fma_f64 v[2:3], v[2:3], v[52:53], -v[54:55]
	v_fma_f64 v[44:45], v[155:156], v[68:69], v[106:107]
	;; [unrolled: 3-line block ×3, first 2 shown]
	v_fma_f64 v[36:37], v[165:166], v[60:61], -v[36:37]
	v_fma_f64 v[52:53], v[167:168], v[56:57], v[62:63]
	v_fma_f64 v[54:55], v[169:170], v[56:57], -v[58:59]
	v_fma_f64 v[10:11], v[10:11], v[72:73], v[118:119]
	;; [unrolled: 2-line block ×4, first 2 shown]
	v_fma_f64 v[22:23], v[90:91], v[80:81], -v[22:23]
	v_add_f64 v[60:61], v[120:121], -v[94:95]
	v_add_f64 v[62:63], v[122:123], -v[96:97]
	;; [unrolled: 1-line block ×13, first 2 shown]
	v_fma_f64 v[78:79], v[183:184], 2.0, -v[32:33]
	v_add_f64 v[52:53], v[112:113], -v[52:53]
	v_add_f64 v[54:55], v[114:115], -v[54:55]
	;; [unrolled: 1-line block ×8, first 2 shown]
	v_fma_f64 v[72:73], v[120:121], 2.0, -v[60:61]
	v_fma_f64 v[74:75], v[122:123], 2.0, -v[62:63]
	;; [unrolled: 1-line block ×7, first 2 shown]
	v_add_f64 v[84:85], v[60:61], v[32:33]
	v_add_f64 v[64:65], v[62:63], -v[64:65]
	v_add_f64 v[28:29], v[66:67], v[28:29]
	v_add_f64 v[32:33], v[16:17], -v[68:69]
	v_fma_f64 v[68:69], v[124:125], 2.0, -v[70:71]
	v_fma_f64 v[86:87], v[126:127], 2.0, -v[20:21]
	;; [unrolled: 1-line block ×8, first 2 shown]
	v_add_f64 v[94:95], v[20:21], -v[34:35]
	v_add_f64 v[92:93], v[70:71], v[30:31]
	v_add_f64 v[30:31], v[6:7], v[2:3]
	v_add_f64 v[34:35], v[8:9], -v[0:1]
	v_fma_f64 v[96:97], v[112:113], 2.0, -v[52:53]
	v_fma_f64 v[98:99], v[114:115], 2.0, -v[54:55]
	v_fma_f64 v[0:1], v[46:47], 2.0, -v[26:27]
	v_fma_f64 v[2:3], v[48:49], 2.0, -v[56:57]
	v_fma_f64 v[44:45], v[44:45], 2.0, -v[10:11]
	v_fma_f64 v[42:43], v[42:43], 2.0, -v[12:13]
	v_fma_f64 v[46:47], v[50:51], 2.0, -v[58:59]
	v_fma_f64 v[36:37], v[36:37], 2.0, -v[22:23]
	v_add_f64 v[100:101], v[52:53], v[56:57]
	v_add_f64 v[102:103], v[54:55], -v[26:27]
	v_add_f64 v[22:23], v[10:11], v[22:23]
	v_add_f64 v[26:27], v[12:13], -v[58:59]
	v_add_f64 v[48:49], v[72:73], -v[76:77]
	;; [unrolled: 1-line block ×5, first 2 shown]
	v_fma_f64 v[76:77], v[60:61], 2.0, -v[84:85]
	v_fma_f64 v[78:79], v[62:63], 2.0, -v[64:65]
	;; [unrolled: 1-line block ×4, first 2 shown]
	v_fma_f64 v[62:63], v[32:33], s[4:5], v[64:65]
	v_add_f64 v[66:67], v[68:69], -v[88:89]
	v_add_f64 v[82:83], v[86:87], -v[18:19]
	v_fma_f64 v[104:105], v[20:21], 2.0, -v[94:95]
	v_add_f64 v[18:19], v[90:91], -v[38:39]
	v_add_f64 v[20:21], v[40:41], -v[24:25]
	v_fma_f64 v[88:89], v[70:71], 2.0, -v[92:93]
	v_fma_f64 v[70:71], v[6:7], 2.0, -v[30:31]
	;; [unrolled: 1-line block ×3, first 2 shown]
	v_add_f64 v[108:109], v[96:97], -v[0:1]
	v_add_f64 v[110:111], v[98:99], -v[2:3]
	;; [unrolled: 1-line block ×4, first 2 shown]
	v_fma_f64 v[112:113], v[52:53], 2.0, -v[100:101]
	v_fma_f64 v[114:115], v[54:55], 2.0, -v[102:103]
	;; [unrolled: 1-line block ×4, first 2 shown]
	v_fma_f64 v[16:17], v[28:29], s[4:5], v[84:85]
	v_fma_f64 v[24:25], v[30:31], s[4:5], v[92:93]
	;; [unrolled: 1-line block ×5, first 2 shown]
	v_fma_f64 v[72:73], v[72:73], 2.0, -v[48:49]
	v_fma_f64 v[74:75], v[74:75], 2.0, -v[50:51]
	;; [unrolled: 1-line block ×4, first 2 shown]
	v_fma_f64 v[122:123], v[58:59], s[0:1], v[76:77]
	v_fma_f64 v[124:125], v[60:61], s[0:1], v[78:79]
	v_add_f64 v[2:3], v[50:51], -v[56:57]
	v_fma_f64 v[6:7], v[28:29], s[0:1], v[62:63]
	v_fma_f64 v[126:127], v[68:69], 2.0, -v[66:67]
	v_fma_f64 v[86:87], v[86:87], 2.0, -v[82:83]
	;; [unrolled: 1-line block ×4, first 2 shown]
	v_fma_f64 v[68:69], v[70:71], s[0:1], v[88:89]
	v_fma_f64 v[90:91], v[106:107], s[0:1], v[104:105]
	v_add_f64 v[0:1], v[48:49], v[4:5]
	v_fma_f64 v[96:97], v[96:97], 2.0, -v[108:109]
	v_fma_f64 v[98:99], v[98:99], 2.0, -v[110:111]
	;; [unrolled: 1-line block ×4, first 2 shown]
	v_fma_f64 v[133:134], v[54:55], s[0:1], v[112:113]
	v_fma_f64 v[143:144], v[52:53], s[0:1], v[114:115]
	;; [unrolled: 1-line block ×3, first 2 shown]
	v_add_f64 v[8:9], v[66:67], v[20:21]
	v_add_f64 v[10:11], v[82:83], -v[18:19]
	v_fma_f64 v[12:13], v[34:35], s[4:5], v[24:25]
	v_fma_f64 v[14:15], v[30:31], s[0:1], v[38:39]
	v_add_f64 v[16:17], v[108:109], v[36:37]
	v_add_f64 v[18:19], v[110:111], -v[46:47]
	v_fma_f64 v[20:21], v[26:27], s[4:5], v[116:117]
	v_fma_f64 v[22:23], v[22:23], s[0:1], v[118:119]
	v_add_f64 v[24:25], v[72:73], -v[80:81]
	v_add_f64 v[26:27], v[74:75], -v[120:121]
	v_fma_f64 v[28:29], v[60:61], s[4:5], v[122:123]
	v_fma_f64 v[30:31], v[58:59], s[0:1], v[124:125]
	v_add_f64 v[40:41], v[126:127], -v[56:57]
	v_add_f64 v[42:43], v[86:87], -v[62:63]
	v_fma_f64 v[44:45], v[106:107], s[4:5], v[68:69]
	v_fma_f64 v[46:47], v[70:71], s[0:1], v[90:91]
	v_fma_f64 v[32:33], v[48:49], 2.0, -v[0:1]
	v_fma_f64 v[34:35], v[50:51], 2.0, -v[2:3]
	v_add_f64 v[48:49], v[96:97], -v[128:129]
	v_add_f64 v[50:51], v[98:99], -v[130:131]
	v_fma_f64 v[52:53], v[52:53], s[4:5], v[133:134]
	v_fma_f64 v[54:55], v[54:55], s[0:1], v[143:144]
	v_fma_f64 v[36:37], v[84:85], 2.0, -v[4:5]
	v_fma_f64 v[38:39], v[64:65], 2.0, -v[6:7]
	;; [unrolled: 1-line block ×10, first 2 shown]
	s_barrier
	buffer_gl0_inv
	ds_write_b128 v139, v[0:3] offset:4896
	ds_write_b128 v139, v[4:7] offset:5712
	v_fma_f64 v[0:1], v[72:73], 2.0, -v[24:25]
	v_fma_f64 v[2:3], v[74:75], 2.0, -v[26:27]
	;; [unrolled: 1-line block ×12, first 2 shown]
	ds_write_b128 v139, v[8:11] offset:5168
	ds_write_b128 v139, v[12:15] offset:5984
	;; [unrolled: 1-line block ×16, first 2 shown]
	ds_write_b128 v139, v[0:3]
	ds_write_b128 v139, v[4:7] offset:816
	ds_write_b128 v139, v[72:75] offset:272
	ds_write_b128 v139, v[76:79] offset:1088
	ds_write_b128 v139, v[80:83] offset:544
	ds_write_b128 v139, v[84:87] offset:1360
	s_waitcnt lgkmcnt(0)
	s_barrier
	buffer_gl0_inv
	s_and_saveexec_b32 s0, vcc_lo
	s_cbranch_execz .LBB0_22
; %bb.21:
	v_mul_lo_u32 v2, s3, v140
	v_mul_lo_u32 v3, s2, v141
	v_mad_u64_u32 v[0:1], null, s2, v140, 0
	v_lshl_add_u32 v26, v138, 4, v142
	v_mov_b32_e32 v139, v132
	v_lshlrev_b64 v[8:9], 4, v[136:137]
	v_add_nc_u32_e32 v131, 17, v138
	v_add3_u32 v1, v1, v3, v2
	v_lshlrev_b64 v[12:13], 4, v[138:139]
	v_lshlrev_b64 v[16:17], 4, v[131:132]
	v_add_nc_u32_e32 v131, 34, v138
	v_lshlrev_b64 v[10:11], 4, v[0:1]
	ds_read_b128 v[0:3], v26
	ds_read_b128 v[4:7], v26 offset:272
	v_lshlrev_b64 v[20:21], 4, v[131:132]
	v_add_nc_u32_e32 v131, 51, v138
	v_add_co_u32 v10, vcc_lo, s10, v10
	v_add_co_ci_u32_e32 v11, vcc_lo, s11, v11, vcc_lo
	v_add_co_u32 v30, vcc_lo, v10, v8
	v_add_co_ci_u32_e32 v31, vcc_lo, v11, v9, vcc_lo
	;; [unrolled: 2-line block ×3, first 2 shown]
	ds_read_b128 v[8:11], v26 offset:544
	ds_read_b128 v[12:15], v26 offset:816
	s_waitcnt lgkmcnt(3)
	global_store_dwordx4 v[18:19], v[0:3], off
	v_add_co_u32 v0, vcc_lo, v30, v16
	v_lshlrev_b64 v[2:3], 4, v[131:132]
	v_add_co_ci_u32_e32 v1, vcc_lo, v31, v17, vcc_lo
	v_add_co_u32 v16, vcc_lo, v30, v20
	v_add_co_ci_u32_e32 v17, vcc_lo, v31, v21, vcc_lo
	v_add_co_u32 v2, vcc_lo, v30, v2
	v_add_nc_u32_e32 v131, 0x44, v138
	v_add_co_ci_u32_e32 v3, vcc_lo, v31, v3, vcc_lo
	s_waitcnt lgkmcnt(2)
	global_store_dwordx4 v[0:1], v[4:7], off
	s_waitcnt lgkmcnt(1)
	global_store_dwordx4 v[16:17], v[8:11], off
	;; [unrolled: 2-line block ×3, first 2 shown]
	v_lshlrev_b64 v[18:19], 4, v[131:132]
	v_add_nc_u32_e32 v131, 0x55, v138
	ds_read_b128 v[0:3], v26 offset:1088
	ds_read_b128 v[4:7], v26 offset:1360
	;; [unrolled: 1-line block ×3, first 2 shown]
	v_lshlrev_b64 v[12:13], 4, v[131:132]
	v_add_nc_u32_e32 v131, 0x66, v138
	v_add_co_u32 v14, vcc_lo, v30, v18
	v_add_co_ci_u32_e32 v15, vcc_lo, v31, v19, vcc_lo
	v_lshlrev_b64 v[16:17], 4, v[131:132]
	v_add_co_u32 v12, vcc_lo, v30, v12
	v_add_co_ci_u32_e32 v13, vcc_lo, v31, v13, vcc_lo
	v_add_nc_u32_e32 v131, 0x77, v138
	v_add_co_u32 v16, vcc_lo, v30, v16
	v_add_co_ci_u32_e32 v17, vcc_lo, v31, v17, vcc_lo
	s_waitcnt lgkmcnt(2)
	global_store_dwordx4 v[14:15], v[0:3], off
	s_waitcnt lgkmcnt(1)
	global_store_dwordx4 v[12:13], v[4:7], off
	v_lshlrev_b64 v[18:19], 4, v[131:132]
	v_add_nc_u32_e32 v131, 0x88, v138
	ds_read_b128 v[0:3], v26 offset:1904
	s_waitcnt lgkmcnt(1)
	global_store_dwordx4 v[16:17], v[8:11], off
	ds_read_b128 v[4:7], v26 offset:2176
	ds_read_b128 v[8:11], v26 offset:2448
	v_lshlrev_b64 v[12:13], 4, v[131:132]
	v_add_nc_u32_e32 v131, 0x99, v138
	v_add_co_u32 v14, vcc_lo, v30, v18
	v_add_co_ci_u32_e32 v15, vcc_lo, v31, v19, vcc_lo
	v_lshlrev_b64 v[16:17], 4, v[131:132]
	v_add_co_u32 v12, vcc_lo, v30, v12
	v_add_co_ci_u32_e32 v13, vcc_lo, v31, v13, vcc_lo
	v_add_nc_u32_e32 v131, 0xaa, v138
	v_add_co_u32 v16, vcc_lo, v30, v16
	v_add_co_ci_u32_e32 v17, vcc_lo, v31, v17, vcc_lo
	s_waitcnt lgkmcnt(2)
	global_store_dwordx4 v[14:15], v[0:3], off
	v_lshlrev_b64 v[14:15], 4, v[131:132]
	v_add_nc_u32_e32 v131, 0xbb, v138
	s_waitcnt lgkmcnt(1)
	global_store_dwordx4 v[12:13], v[4:7], off
	s_waitcnt lgkmcnt(0)
	global_store_dwordx4 v[16:17], v[8:11], off
	ds_read_b128 v[0:3], v26 offset:2720
	ds_read_b128 v[4:7], v26 offset:2992
	;; [unrolled: 1-line block ×3, first 2 shown]
	v_lshlrev_b64 v[12:13], 4, v[131:132]
	v_add_nc_u32_e32 v131, 0xcc, v138
	v_add_co_u32 v14, vcc_lo, v30, v14
	v_add_co_ci_u32_e32 v15, vcc_lo, v31, v15, vcc_lo
	v_lshlrev_b64 v[16:17], 4, v[131:132]
	v_add_co_u32 v12, vcc_lo, v30, v12
	v_add_co_ci_u32_e32 v13, vcc_lo, v31, v13, vcc_lo
	v_add_nc_u32_e32 v131, 0xdd, v138
	v_add_co_u32 v16, vcc_lo, v30, v16
	v_add_co_ci_u32_e32 v17, vcc_lo, v31, v17, vcc_lo
	v_lshlrev_b64 v[18:19], 4, v[131:132]
	v_add_nc_u32_e32 v131, 0xee, v138
	s_waitcnt lgkmcnt(2)
	global_store_dwordx4 v[14:15], v[0:3], off
	s_waitcnt lgkmcnt(1)
	global_store_dwordx4 v[12:13], v[4:7], off
	;; [unrolled: 2-line block ×3, first 2 shown]
	ds_read_b128 v[0:3], v26 offset:3536
	ds_read_b128 v[4:7], v26 offset:3808
	;; [unrolled: 1-line block ×3, first 2 shown]
	v_lshlrev_b64 v[12:13], 4, v[131:132]
	v_add_nc_u32_e32 v131, 0xff, v138
	v_add_co_u32 v14, vcc_lo, v30, v18
	v_add_co_ci_u32_e32 v15, vcc_lo, v31, v19, vcc_lo
	v_lshlrev_b64 v[16:17], 4, v[131:132]
	v_add_co_u32 v12, vcc_lo, v30, v12
	v_add_co_ci_u32_e32 v13, vcc_lo, v31, v13, vcc_lo
	v_add_nc_u32_e32 v131, 0x110, v138
	v_add_co_u32 v16, vcc_lo, v30, v16
	v_add_co_ci_u32_e32 v17, vcc_lo, v31, v17, vcc_lo
	s_waitcnt lgkmcnt(2)
	global_store_dwordx4 v[14:15], v[0:3], off
	s_waitcnt lgkmcnt(1)
	global_store_dwordx4 v[12:13], v[4:7], off
	;; [unrolled: 2-line block ×3, first 2 shown]
	v_lshlrev_b64 v[14:15], 4, v[131:132]
	v_add_nc_u32_e32 v131, 0x121, v138
	ds_read_b128 v[0:3], v26 offset:4352
	ds_read_b128 v[4:7], v26 offset:4624
	;; [unrolled: 1-line block ×3, first 2 shown]
	v_lshlrev_b64 v[12:13], 4, v[131:132]
	v_add_nc_u32_e32 v131, 0x132, v138
	v_add_co_u32 v14, vcc_lo, v30, v14
	v_add_co_ci_u32_e32 v15, vcc_lo, v31, v15, vcc_lo
	v_lshlrev_b64 v[16:17], 4, v[131:132]
	v_add_nc_u32_e32 v131, 0x143, v138
	v_add_co_u32 v12, vcc_lo, v30, v12
	v_add_co_ci_u32_e32 v13, vcc_lo, v31, v13, vcc_lo
	v_lshlrev_b64 v[18:19], 4, v[131:132]
	v_add_nc_u32_e32 v131, 0x154, v138
	v_add_co_u32 v16, vcc_lo, v30, v16
	s_waitcnt lgkmcnt(2)
	global_store_dwordx4 v[14:15], v[0:3], off
	s_waitcnt lgkmcnt(1)
	global_store_dwordx4 v[12:13], v[4:7], off
	v_add_co_ci_u32_e32 v17, vcc_lo, v31, v17, vcc_lo
	v_lshlrev_b64 v[4:5], 4, v[131:132]
	v_add_co_u32 v20, vcc_lo, v30, v18
	v_add_nc_u32_e32 v131, 0x165, v138
	v_add_co_ci_u32_e32 v21, vcc_lo, v31, v19, vcc_lo
	v_add_co_u32 v22, vcc_lo, v30, v4
	s_waitcnt lgkmcnt(0)
	global_store_dwordx4 v[16:17], v[8:11], off
	ds_read_b128 v[0:3], v26 offset:5168
	v_add_co_ci_u32_e32 v23, vcc_lo, v31, v5, vcc_lo
	ds_read_b128 v[4:7], v26 offset:5440
	ds_read_b128 v[8:11], v26 offset:5712
	;; [unrolled: 1-line block ×4, first 2 shown]
	v_lshlrev_b64 v[24:25], 4, v[131:132]
	v_add_nc_u32_e32 v131, 0x176, v138
	v_lshlrev_b64 v[26:27], 4, v[131:132]
	v_add_nc_u32_e32 v131, 0x187, v138
	v_add_co_u32 v24, vcc_lo, v30, v24
	v_add_co_ci_u32_e32 v25, vcc_lo, v31, v25, vcc_lo
	v_lshlrev_b64 v[28:29], 4, v[131:132]
	v_add_co_u32 v26, vcc_lo, v30, v26
	v_add_co_ci_u32_e32 v27, vcc_lo, v31, v27, vcc_lo
	v_add_co_u32 v28, vcc_lo, v30, v28
	v_add_co_ci_u32_e32 v29, vcc_lo, v31, v29, vcc_lo
	s_waitcnt lgkmcnt(4)
	global_store_dwordx4 v[20:21], v[0:3], off
	s_waitcnt lgkmcnt(3)
	global_store_dwordx4 v[22:23], v[4:7], off
	;; [unrolled: 2-line block ×5, first 2 shown]
.LBB0_22:
	s_endpgm
	.section	.rodata,"a",@progbits
	.p2align	6, 0x0
	.amdhsa_kernel fft_rtc_back_len408_factors_17_3_8_wgs_51_tpt_17_halfLds_dp_op_CI_CI_unitstride_sbrr_C2R_dirReg
		.amdhsa_group_segment_fixed_size 0
		.amdhsa_private_segment_fixed_size 0
		.amdhsa_kernarg_size 104
		.amdhsa_user_sgpr_count 6
		.amdhsa_user_sgpr_private_segment_buffer 1
		.amdhsa_user_sgpr_dispatch_ptr 0
		.amdhsa_user_sgpr_queue_ptr 0
		.amdhsa_user_sgpr_kernarg_segment_ptr 1
		.amdhsa_user_sgpr_dispatch_id 0
		.amdhsa_user_sgpr_flat_scratch_init 0
		.amdhsa_user_sgpr_private_segment_size 0
		.amdhsa_wavefront_size32 1
		.amdhsa_uses_dynamic_stack 0
		.amdhsa_system_sgpr_private_segment_wavefront_offset 0
		.amdhsa_system_sgpr_workgroup_id_x 1
		.amdhsa_system_sgpr_workgroup_id_y 0
		.amdhsa_system_sgpr_workgroup_id_z 0
		.amdhsa_system_sgpr_workgroup_info 0
		.amdhsa_system_vgpr_workitem_id 0
		.amdhsa_next_free_vgpr 187
		.amdhsa_next_free_sgpr 58
		.amdhsa_reserve_vcc 1
		.amdhsa_reserve_flat_scratch 0
		.amdhsa_float_round_mode_32 0
		.amdhsa_float_round_mode_16_64 0
		.amdhsa_float_denorm_mode_32 3
		.amdhsa_float_denorm_mode_16_64 3
		.amdhsa_dx10_clamp 1
		.amdhsa_ieee_mode 1
		.amdhsa_fp16_overflow 0
		.amdhsa_workgroup_processor_mode 1
		.amdhsa_memory_ordered 1
		.amdhsa_forward_progress 0
		.amdhsa_shared_vgpr_count 0
		.amdhsa_exception_fp_ieee_invalid_op 0
		.amdhsa_exception_fp_denorm_src 0
		.amdhsa_exception_fp_ieee_div_zero 0
		.amdhsa_exception_fp_ieee_overflow 0
		.amdhsa_exception_fp_ieee_underflow 0
		.amdhsa_exception_fp_ieee_inexact 0
		.amdhsa_exception_int_div_zero 0
	.end_amdhsa_kernel
	.text
.Lfunc_end0:
	.size	fft_rtc_back_len408_factors_17_3_8_wgs_51_tpt_17_halfLds_dp_op_CI_CI_unitstride_sbrr_C2R_dirReg, .Lfunc_end0-fft_rtc_back_len408_factors_17_3_8_wgs_51_tpt_17_halfLds_dp_op_CI_CI_unitstride_sbrr_C2R_dirReg
                                        ; -- End function
	.section	.AMDGPU.csdata,"",@progbits
; Kernel info:
; codeLenInByte = 22712
; NumSgprs: 60
; NumVgprs: 187
; ScratchSize: 0
; MemoryBound: 0
; FloatMode: 240
; IeeeMode: 1
; LDSByteSize: 0 bytes/workgroup (compile time only)
; SGPRBlocks: 7
; VGPRBlocks: 23
; NumSGPRsForWavesPerEU: 60
; NumVGPRsForWavesPerEU: 187
; Occupancy: 5
; WaveLimiterHint : 1
; COMPUTE_PGM_RSRC2:SCRATCH_EN: 0
; COMPUTE_PGM_RSRC2:USER_SGPR: 6
; COMPUTE_PGM_RSRC2:TRAP_HANDLER: 0
; COMPUTE_PGM_RSRC2:TGID_X_EN: 1
; COMPUTE_PGM_RSRC2:TGID_Y_EN: 0
; COMPUTE_PGM_RSRC2:TGID_Z_EN: 0
; COMPUTE_PGM_RSRC2:TIDIG_COMP_CNT: 0
	.text
	.p2alignl 6, 3214868480
	.fill 48, 4, 3214868480
	.type	__hip_cuid_9e3501bb99b04e00,@object ; @__hip_cuid_9e3501bb99b04e00
	.section	.bss,"aw",@nobits
	.globl	__hip_cuid_9e3501bb99b04e00
__hip_cuid_9e3501bb99b04e00:
	.byte	0                               ; 0x0
	.size	__hip_cuid_9e3501bb99b04e00, 1

	.ident	"AMD clang version 19.0.0git (https://github.com/RadeonOpenCompute/llvm-project roc-6.4.0 25133 c7fe45cf4b819c5991fe208aaa96edf142730f1d)"
	.section	".note.GNU-stack","",@progbits
	.addrsig
	.addrsig_sym __hip_cuid_9e3501bb99b04e00
	.amdgpu_metadata
---
amdhsa.kernels:
  - .args:
      - .actual_access:  read_only
        .address_space:  global
        .offset:         0
        .size:           8
        .value_kind:     global_buffer
      - .offset:         8
        .size:           8
        .value_kind:     by_value
      - .actual_access:  read_only
        .address_space:  global
        .offset:         16
        .size:           8
        .value_kind:     global_buffer
      - .actual_access:  read_only
        .address_space:  global
        .offset:         24
        .size:           8
        .value_kind:     global_buffer
      - .actual_access:  read_only
        .address_space:  global
        .offset:         32
        .size:           8
        .value_kind:     global_buffer
      - .offset:         40
        .size:           8
        .value_kind:     by_value
      - .actual_access:  read_only
        .address_space:  global
        .offset:         48
        .size:           8
        .value_kind:     global_buffer
      - .actual_access:  read_only
        .address_space:  global
        .offset:         56
        .size:           8
        .value_kind:     global_buffer
      - .offset:         64
        .size:           4
        .value_kind:     by_value
      - .actual_access:  read_only
        .address_space:  global
        .offset:         72
        .size:           8
        .value_kind:     global_buffer
      - .actual_access:  read_only
        .address_space:  global
        .offset:         80
        .size:           8
        .value_kind:     global_buffer
      - .actual_access:  read_only
        .address_space:  global
        .offset:         88
        .size:           8
        .value_kind:     global_buffer
      - .actual_access:  write_only
        .address_space:  global
        .offset:         96
        .size:           8
        .value_kind:     global_buffer
    .group_segment_fixed_size: 0
    .kernarg_segment_align: 8
    .kernarg_segment_size: 104
    .language:       OpenCL C
    .language_version:
      - 2
      - 0
    .max_flat_workgroup_size: 51
    .name:           fft_rtc_back_len408_factors_17_3_8_wgs_51_tpt_17_halfLds_dp_op_CI_CI_unitstride_sbrr_C2R_dirReg
    .private_segment_fixed_size: 0
    .sgpr_count:     60
    .sgpr_spill_count: 0
    .symbol:         fft_rtc_back_len408_factors_17_3_8_wgs_51_tpt_17_halfLds_dp_op_CI_CI_unitstride_sbrr_C2R_dirReg.kd
    .uniform_work_group_size: 1
    .uses_dynamic_stack: false
    .vgpr_count:     187
    .vgpr_spill_count: 0
    .wavefront_size: 32
    .workgroup_processor_mode: 1
amdhsa.target:   amdgcn-amd-amdhsa--gfx1030
amdhsa.version:
  - 1
  - 2
...

	.end_amdgpu_metadata
